;; amdgpu-corpus repo=ROCm/rocSPARSE kind=compiled arch=gfx950 opt=O3
	.amdgcn_target "amdgcn-amd-amdhsa--gfx950"
	.amdhsa_code_object_version 6
	.section	.text._ZN9rocsparseL49gtsv_nopivot_strided_batch_pcr_pow2_shared_kernelILj2EfEEviiiPKT0_S3_S3_PS1_,"axG",@progbits,_ZN9rocsparseL49gtsv_nopivot_strided_batch_pcr_pow2_shared_kernelILj2EfEEviiiPKT0_S3_S3_PS1_,comdat
	.globl	_ZN9rocsparseL49gtsv_nopivot_strided_batch_pcr_pow2_shared_kernelILj2EfEEviiiPKT0_S3_S3_PS1_ ; -- Begin function _ZN9rocsparseL49gtsv_nopivot_strided_batch_pcr_pow2_shared_kernelILj2EfEEviiiPKT0_S3_S3_PS1_
	.p2align	8
	.type	_ZN9rocsparseL49gtsv_nopivot_strided_batch_pcr_pow2_shared_kernelILj2EfEEviiiPKT0_S3_S3_PS1_,@function
_ZN9rocsparseL49gtsv_nopivot_strided_batch_pcr_pow2_shared_kernelILj2EfEEviiiPKT0_S3_S3_PS1_: ; @_ZN9rocsparseL49gtsv_nopivot_strided_batch_pcr_pow2_shared_kernelILj2EfEEviiiPKT0_S3_S3_PS1_
; %bb.0:
	s_load_dword s3, s[0:1], 0x8
	s_load_dwordx8 s[4:11], s[0:1], 0x10
	v_lshlrev_b32_e32 v1, 2, v0
	v_cmp_eq_u32_e32 vcc, 0, v0
	s_waitcnt lgkmcnt(0)
	s_mul_i32 s3, s3, s2
	v_add_u32_e32 v2, s3, v0
	v_ashrrev_i32_e32 v3, 31, v2
	v_lshlrev_b64 v[2:3], 2, v[2:3]
	v_lshl_add_u64 v[4:5], s[4:5], 0, v[2:3]
	v_lshl_add_u64 v[6:7], s[6:7], 0, v[2:3]
	global_load_dword v8, v[4:5], off
	global_load_dword v9, v[6:7], off
	v_lshl_add_u64 v[4:5], s[8:9], 0, v[2:3]
	v_lshl_add_u64 v[2:3], s[10:11], 0, v[2:3]
	global_load_dword v4, v[4:5], off
	s_nop 0
	global_load_dword v5, v[2:3], off
	s_waitcnt vmcnt(2)
	ds_write2_b32 v1, v8, v9 offset1:4
	s_waitcnt vmcnt(0)
	ds_write2_b32 v1, v4, v5 offset0:8 offset1:16
	s_waitcnt lgkmcnt(0)
	; wave barrier
	s_and_saveexec_b64 s[0:1], vcc
	s_cbranch_execz .LBB0_2
; %bb.1:
	v_mov_b32_e32 v14, 0
	v_or_b32_e32 v0, 16, v1
	v_or_b32_e32 v9, 32, v1
	ds_read2_b32 v[4:5], v14 offset0:5 offset1:6
	ds_read2_b32 v[6:7], v14 offset0:1 offset1:17
	ds_read_b32 v8, v0
	s_waitcnt lgkmcnt(2)
	ds_read_b32 v5, v9
	v_or_b32_e32 v0, 64, v1
	ds_read_b32 v10, v0
	s_waitcnt lgkmcnt(3)
	v_mov_b32_e32 v9, v6
	s_waitcnt lgkmcnt(1)
	v_pk_mul_f32 v[12:13], v[4:5], v[8:9]
	s_nop 0
	v_sub_f32_e32 v0, v12, v13
	v_div_scale_f32 v9, s[2:3], v0, v0, 1.0
	v_rcp_f32_e32 v11, v9
	s_nop 0
	v_fma_f32 v12, -v9, v11, 1.0
	v_fmac_f32_e32 v11, v12, v11
	v_div_scale_f32 v12, vcc, 1.0, v0, 1.0
	v_mul_f32_e32 v13, v12, v11
	v_fma_f32 v15, -v9, v13, v12
	v_fmac_f32_e32 v13, v15, v11
	v_fma_f32 v9, -v9, v13, v12
	v_div_fmas_f32 v9, v9, v11, v13
	v_mov_b32_e32 v11, v7
	v_mov_b32_e32 v7, v5
	v_mov_b32_e32 v12, v4
	v_mov_b32_e32 v13, v8
	s_waitcnt lgkmcnt(0)
	v_pk_mul_f32 v[4:5], v[6:7], v[10:11]
	v_div_fixup_f32 v0, v9, v0, 1.0
	v_pk_fma_f32 v[4:5], v[12:13], v[10:11], v[4:5] op_sel:[0,0,1] op_sel_hi:[1,1,0] neg_lo:[0,0,1] neg_hi:[0,0,1]
	s_nop 0
	v_pk_mul_f32 v[4:5], v[0:1], v[4:5] op_sel_hi:[0,1]
	ds_write_b64 v14, v[4:5] offset:48
.LBB0_2:
	s_or_b64 exec, exec, s[0:1]
	s_waitcnt lgkmcnt(0)
	; wave barrier
	ds_read_b32 v0, v1 offset:48
	s_waitcnt lgkmcnt(0)
	global_store_dword v[2:3], v0, off
	s_endpgm
	.section	.rodata,"a",@progbits
	.p2align	6, 0x0
	.amdhsa_kernel _ZN9rocsparseL49gtsv_nopivot_strided_batch_pcr_pow2_shared_kernelILj2EfEEviiiPKT0_S3_S3_PS1_
		.amdhsa_group_segment_fixed_size 76
		.amdhsa_private_segment_fixed_size 0
		.amdhsa_kernarg_size 48
		.amdhsa_user_sgpr_count 2
		.amdhsa_user_sgpr_dispatch_ptr 0
		.amdhsa_user_sgpr_queue_ptr 0
		.amdhsa_user_sgpr_kernarg_segment_ptr 1
		.amdhsa_user_sgpr_dispatch_id 0
		.amdhsa_user_sgpr_kernarg_preload_length 0
		.amdhsa_user_sgpr_kernarg_preload_offset 0
		.amdhsa_user_sgpr_private_segment_size 0
		.amdhsa_uses_dynamic_stack 0
		.amdhsa_enable_private_segment 0
		.amdhsa_system_sgpr_workgroup_id_x 1
		.amdhsa_system_sgpr_workgroup_id_y 0
		.amdhsa_system_sgpr_workgroup_id_z 0
		.amdhsa_system_sgpr_workgroup_info 0
		.amdhsa_system_vgpr_workitem_id 0
		.amdhsa_next_free_vgpr 16
		.amdhsa_next_free_sgpr 12
		.amdhsa_accum_offset 16
		.amdhsa_reserve_vcc 1
		.amdhsa_float_round_mode_32 0
		.amdhsa_float_round_mode_16_64 0
		.amdhsa_float_denorm_mode_32 3
		.amdhsa_float_denorm_mode_16_64 3
		.amdhsa_dx10_clamp 1
		.amdhsa_ieee_mode 1
		.amdhsa_fp16_overflow 0
		.amdhsa_tg_split 0
		.amdhsa_exception_fp_ieee_invalid_op 0
		.amdhsa_exception_fp_denorm_src 0
		.amdhsa_exception_fp_ieee_div_zero 0
		.amdhsa_exception_fp_ieee_overflow 0
		.amdhsa_exception_fp_ieee_underflow 0
		.amdhsa_exception_fp_ieee_inexact 0
		.amdhsa_exception_int_div_zero 0
	.end_amdhsa_kernel
	.section	.text._ZN9rocsparseL49gtsv_nopivot_strided_batch_pcr_pow2_shared_kernelILj2EfEEviiiPKT0_S3_S3_PS1_,"axG",@progbits,_ZN9rocsparseL49gtsv_nopivot_strided_batch_pcr_pow2_shared_kernelILj2EfEEviiiPKT0_S3_S3_PS1_,comdat
.Lfunc_end0:
	.size	_ZN9rocsparseL49gtsv_nopivot_strided_batch_pcr_pow2_shared_kernelILj2EfEEviiiPKT0_S3_S3_PS1_, .Lfunc_end0-_ZN9rocsparseL49gtsv_nopivot_strided_batch_pcr_pow2_shared_kernelILj2EfEEviiiPKT0_S3_S3_PS1_
                                        ; -- End function
	.set _ZN9rocsparseL49gtsv_nopivot_strided_batch_pcr_pow2_shared_kernelILj2EfEEviiiPKT0_S3_S3_PS1_.num_vgpr, 16
	.set _ZN9rocsparseL49gtsv_nopivot_strided_batch_pcr_pow2_shared_kernelILj2EfEEviiiPKT0_S3_S3_PS1_.num_agpr, 0
	.set _ZN9rocsparseL49gtsv_nopivot_strided_batch_pcr_pow2_shared_kernelILj2EfEEviiiPKT0_S3_S3_PS1_.numbered_sgpr, 12
	.set _ZN9rocsparseL49gtsv_nopivot_strided_batch_pcr_pow2_shared_kernelILj2EfEEviiiPKT0_S3_S3_PS1_.num_named_barrier, 0
	.set _ZN9rocsparseL49gtsv_nopivot_strided_batch_pcr_pow2_shared_kernelILj2EfEEviiiPKT0_S3_S3_PS1_.private_seg_size, 0
	.set _ZN9rocsparseL49gtsv_nopivot_strided_batch_pcr_pow2_shared_kernelILj2EfEEviiiPKT0_S3_S3_PS1_.uses_vcc, 1
	.set _ZN9rocsparseL49gtsv_nopivot_strided_batch_pcr_pow2_shared_kernelILj2EfEEviiiPKT0_S3_S3_PS1_.uses_flat_scratch, 0
	.set _ZN9rocsparseL49gtsv_nopivot_strided_batch_pcr_pow2_shared_kernelILj2EfEEviiiPKT0_S3_S3_PS1_.has_dyn_sized_stack, 0
	.set _ZN9rocsparseL49gtsv_nopivot_strided_batch_pcr_pow2_shared_kernelILj2EfEEviiiPKT0_S3_S3_PS1_.has_recursion, 0
	.set _ZN9rocsparseL49gtsv_nopivot_strided_batch_pcr_pow2_shared_kernelILj2EfEEviiiPKT0_S3_S3_PS1_.has_indirect_call, 0
	.section	.AMDGPU.csdata,"",@progbits
; Kernel info:
; codeLenInByte = 404
; TotalNumSgprs: 18
; NumVgprs: 16
; NumAgprs: 0
; TotalNumVgprs: 16
; ScratchSize: 0
; MemoryBound: 0
; FloatMode: 240
; IeeeMode: 1
; LDSByteSize: 76 bytes/workgroup (compile time only)
; SGPRBlocks: 2
; VGPRBlocks: 1
; NumSGPRsForWavesPerEU: 18
; NumVGPRsForWavesPerEU: 16
; AccumOffset: 16
; Occupancy: 8
; WaveLimiterHint : 0
; COMPUTE_PGM_RSRC2:SCRATCH_EN: 0
; COMPUTE_PGM_RSRC2:USER_SGPR: 2
; COMPUTE_PGM_RSRC2:TRAP_HANDLER: 0
; COMPUTE_PGM_RSRC2:TGID_X_EN: 1
; COMPUTE_PGM_RSRC2:TGID_Y_EN: 0
; COMPUTE_PGM_RSRC2:TGID_Z_EN: 0
; COMPUTE_PGM_RSRC2:TIDIG_COMP_CNT: 0
; COMPUTE_PGM_RSRC3_GFX90A:ACCUM_OFFSET: 3
; COMPUTE_PGM_RSRC3_GFX90A:TG_SPLIT: 0
	.section	.text._ZN9rocsparseL49gtsv_nopivot_strided_batch_pcr_pow2_shared_kernelILj4EfEEviiiPKT0_S3_S3_PS1_,"axG",@progbits,_ZN9rocsparseL49gtsv_nopivot_strided_batch_pcr_pow2_shared_kernelILj4EfEEviiiPKT0_S3_S3_PS1_,comdat
	.globl	_ZN9rocsparseL49gtsv_nopivot_strided_batch_pcr_pow2_shared_kernelILj4EfEEviiiPKT0_S3_S3_PS1_ ; -- Begin function _ZN9rocsparseL49gtsv_nopivot_strided_batch_pcr_pow2_shared_kernelILj4EfEEviiiPKT0_S3_S3_PS1_
	.p2align	8
	.type	_ZN9rocsparseL49gtsv_nopivot_strided_batch_pcr_pow2_shared_kernelILj4EfEEviiiPKT0_S3_S3_PS1_,@function
_ZN9rocsparseL49gtsv_nopivot_strided_batch_pcr_pow2_shared_kernelILj4EfEEviiiPKT0_S3_S3_PS1_: ; @_ZN9rocsparseL49gtsv_nopivot_strided_batch_pcr_pow2_shared_kernelILj4EfEEviiiPKT0_S3_S3_PS1_
; %bb.0:
	s_load_dword s3, s[0:1], 0x8
	s_load_dwordx8 s[4:11], s[0:1], 0x10
	v_lshlrev_b32_e32 v1, 2, v0
	s_waitcnt lgkmcnt(0)
	s_mul_i32 s3, s3, s2
	v_add_u32_e32 v2, s3, v0
	v_ashrrev_i32_e32 v3, 31, v2
	v_lshlrev_b64 v[2:3], 2, v[2:3]
	v_lshl_add_u64 v[4:5], s[4:5], 0, v[2:3]
	v_lshl_add_u64 v[6:7], s[6:7], 0, v[2:3]
	global_load_dword v8, v[4:5], off
	global_load_dword v9, v[6:7], off
	v_lshl_add_u64 v[4:5], s[8:9], 0, v[2:3]
	v_lshl_add_u64 v[2:3], s[10:11], 0, v[2:3]
	global_load_dword v4, v[4:5], off
	v_min_u32_e32 v6, 2, v0
	global_load_dword v5, v[2:3], off
	v_sub_u32_e64 v7, v0, 1 clamp
	v_lshlrev_b32_e32 v12, 2, v7
	v_lshlrev_b32_e32 v14, 2, v6
	s_waitcnt vmcnt(2)
	ds_write2_b32 v1, v8, v9 offset1:8
	s_waitcnt vmcnt(0)
	ds_write2_b32 v1, v4, v5 offset0:16 offset1:32
	s_waitcnt lgkmcnt(0)
	; wave barrier
	ds_read2_b32 v[4:5], v12 offset1:8
	ds_read2_b32 v[6:7], v1 offset1:8
	ds_read2_b32 v[8:9], v1 offset0:16 offset1:32
	ds_read2_b32 v[10:11], v14 offset0:1 offset1:9
	;; [unrolled: 1-line block ×4, first 2 shown]
	s_waitcnt lgkmcnt(4)
	v_div_scale_f32 v16, s[0:1], v5, v5, v6
	s_waitcnt lgkmcnt(2)
	v_div_scale_f32 v18, s[0:1], v11, v11, v8
	v_rcp_f32_e32 v19, v16
	v_rcp_f32_e32 v20, v18
	v_div_scale_f32 v17, vcc, v6, v5, v6
	v_fma_f32 v22, -v16, v19, 1.0
	v_fma_f32 v23, -v18, v20, 1.0
	v_fmac_f32_e32 v19, v22, v19
	v_div_scale_f32 v21, s[0:1], v8, v11, v8
	v_fmac_f32_e32 v20, v23, v20
	v_mul_f32_e32 v22, v17, v19
	v_mul_f32_e32 v23, v21, v20
	v_fma_f32 v24, -v16, v22, v17
	v_fma_f32 v25, -v18, v23, v21
	v_fmac_f32_e32 v22, v24, v19
	v_fmac_f32_e32 v23, v25, v20
	v_fma_f32 v16, -v16, v22, v17
	v_fma_f32 v17, -v18, v23, v21
	v_div_fmas_f32 v16, v16, v19, v22
	s_mov_b64 vcc, s[0:1]
	v_div_fixup_f32 v5, v16, v5, v6
	v_div_fmas_f32 v6, v17, v20, v23
	v_div_fixup_f32 v6, v6, v11, v8
	s_waitcnt lgkmcnt(1)
	v_fma_f32 v7, -v5, v12, v7
	v_fma_f32 v8, -v5, v13, v9
	v_mul_f32_e64 v4, v5, -v4
	v_fma_f32 v5, -v6, v10, v7
	v_cmp_gt_u32_e32 vcc, 2, v0
	s_waitcnt lgkmcnt(0)
	; wave barrier
	v_fma_f32 v7, -v6, v15, v8
	v_mul_f32_e64 v6, v6, -v14
	ds_write2_b32 v1, v4, v5 offset1:8
	ds_write2_b32 v1, v6, v7 offset0:16 offset1:32
	s_waitcnt lgkmcnt(0)
	; wave barrier
	s_and_saveexec_b64 s[0:1], vcc
	s_cbranch_execz .LBB1_2
; %bb.1:
	v_or_b32_e32 v4, 64, v1
	v_or_b32_e32 v0, 32, v1
	ds_read_b32 v8, v4
	ds_read_b32 v9, v1 offset:8
	ds_read2_b32 v[4:5], v0 offset1:2
	v_or_b32_e32 v6, 0x80, v1
	s_waitcnt lgkmcnt(1)
	v_mul_f32_e32 v0, v8, v9
	s_waitcnt lgkmcnt(0)
	v_fma_f32 v0, v5, v4, -v0
	v_div_scale_f32 v10, s[2:3], v0, v0, 1.0
	v_rcp_f32_e32 v11, v10
	v_div_scale_f32 v12, vcc, 1.0, v0, 1.0
	v_fma_f32 v7, -v10, v11, 1.0
	v_fmac_f32_e32 v11, v7, v11
	v_mul_f32_e32 v13, v12, v11
	v_fma_f32 v7, -v10, v13, v12
	v_fmac_f32_e32 v13, v7, v11
	ds_read2_b32 v[6:7], v6 offset1:2
	v_fma_f32 v10, -v10, v13, v12
	v_div_fmas_f32 v10, v10, v11, v13
	v_div_fixup_f32 v0, v10, v0, 1.0
	s_waitcnt lgkmcnt(0)
	v_mul_f32_e32 v8, v8, v7
	v_fma_f32 v5, v5, v6, -v8
	v_mul_f32_e32 v6, v9, v6
	v_fma_f32 v4, v4, v7, -v6
	v_mul_f32_e32 v5, v0, v5
	v_mul_f32_e32 v0, v0, v4
	ds_write2_b32 v1, v5, v0 offset0:24 offset1:26
.LBB1_2:
	s_or_b64 exec, exec, s[0:1]
	s_waitcnt lgkmcnt(0)
	; wave barrier
	ds_read_b32 v0, v1 offset:96
	s_waitcnt lgkmcnt(0)
	global_store_dword v[2:3], v0, off
	s_endpgm
	.section	.rodata,"a",@progbits
	.p2align	6, 0x0
	.amdhsa_kernel _ZN9rocsparseL49gtsv_nopivot_strided_batch_pcr_pow2_shared_kernelILj4EfEEviiiPKT0_S3_S3_PS1_
		.amdhsa_group_segment_fixed_size 148
		.amdhsa_private_segment_fixed_size 0
		.amdhsa_kernarg_size 48
		.amdhsa_user_sgpr_count 2
		.amdhsa_user_sgpr_dispatch_ptr 0
		.amdhsa_user_sgpr_queue_ptr 0
		.amdhsa_user_sgpr_kernarg_segment_ptr 1
		.amdhsa_user_sgpr_dispatch_id 0
		.amdhsa_user_sgpr_kernarg_preload_length 0
		.amdhsa_user_sgpr_kernarg_preload_offset 0
		.amdhsa_user_sgpr_private_segment_size 0
		.amdhsa_uses_dynamic_stack 0
		.amdhsa_enable_private_segment 0
		.amdhsa_system_sgpr_workgroup_id_x 1
		.amdhsa_system_sgpr_workgroup_id_y 0
		.amdhsa_system_sgpr_workgroup_id_z 0
		.amdhsa_system_sgpr_workgroup_info 0
		.amdhsa_system_vgpr_workitem_id 0
		.amdhsa_next_free_vgpr 26
		.amdhsa_next_free_sgpr 12
		.amdhsa_accum_offset 28
		.amdhsa_reserve_vcc 1
		.amdhsa_float_round_mode_32 0
		.amdhsa_float_round_mode_16_64 0
		.amdhsa_float_denorm_mode_32 3
		.amdhsa_float_denorm_mode_16_64 3
		.amdhsa_dx10_clamp 1
		.amdhsa_ieee_mode 1
		.amdhsa_fp16_overflow 0
		.amdhsa_tg_split 0
		.amdhsa_exception_fp_ieee_invalid_op 0
		.amdhsa_exception_fp_denorm_src 0
		.amdhsa_exception_fp_ieee_div_zero 0
		.amdhsa_exception_fp_ieee_overflow 0
		.amdhsa_exception_fp_ieee_underflow 0
		.amdhsa_exception_fp_ieee_inexact 0
		.amdhsa_exception_int_div_zero 0
	.end_amdhsa_kernel
	.section	.text._ZN9rocsparseL49gtsv_nopivot_strided_batch_pcr_pow2_shared_kernelILj4EfEEviiiPKT0_S3_S3_PS1_,"axG",@progbits,_ZN9rocsparseL49gtsv_nopivot_strided_batch_pcr_pow2_shared_kernelILj4EfEEviiiPKT0_S3_S3_PS1_,comdat
.Lfunc_end1:
	.size	_ZN9rocsparseL49gtsv_nopivot_strided_batch_pcr_pow2_shared_kernelILj4EfEEviiiPKT0_S3_S3_PS1_, .Lfunc_end1-_ZN9rocsparseL49gtsv_nopivot_strided_batch_pcr_pow2_shared_kernelILj4EfEEviiiPKT0_S3_S3_PS1_
                                        ; -- End function
	.set _ZN9rocsparseL49gtsv_nopivot_strided_batch_pcr_pow2_shared_kernelILj4EfEEviiiPKT0_S3_S3_PS1_.num_vgpr, 26
	.set _ZN9rocsparseL49gtsv_nopivot_strided_batch_pcr_pow2_shared_kernelILj4EfEEviiiPKT0_S3_S3_PS1_.num_agpr, 0
	.set _ZN9rocsparseL49gtsv_nopivot_strided_batch_pcr_pow2_shared_kernelILj4EfEEviiiPKT0_S3_S3_PS1_.numbered_sgpr, 12
	.set _ZN9rocsparseL49gtsv_nopivot_strided_batch_pcr_pow2_shared_kernelILj4EfEEviiiPKT0_S3_S3_PS1_.num_named_barrier, 0
	.set _ZN9rocsparseL49gtsv_nopivot_strided_batch_pcr_pow2_shared_kernelILj4EfEEviiiPKT0_S3_S3_PS1_.private_seg_size, 0
	.set _ZN9rocsparseL49gtsv_nopivot_strided_batch_pcr_pow2_shared_kernelILj4EfEEviiiPKT0_S3_S3_PS1_.uses_vcc, 1
	.set _ZN9rocsparseL49gtsv_nopivot_strided_batch_pcr_pow2_shared_kernelILj4EfEEviiiPKT0_S3_S3_PS1_.uses_flat_scratch, 0
	.set _ZN9rocsparseL49gtsv_nopivot_strided_batch_pcr_pow2_shared_kernelILj4EfEEviiiPKT0_S3_S3_PS1_.has_dyn_sized_stack, 0
	.set _ZN9rocsparseL49gtsv_nopivot_strided_batch_pcr_pow2_shared_kernelILj4EfEEviiiPKT0_S3_S3_PS1_.has_recursion, 0
	.set _ZN9rocsparseL49gtsv_nopivot_strided_batch_pcr_pow2_shared_kernelILj4EfEEviiiPKT0_S3_S3_PS1_.has_indirect_call, 0
	.section	.AMDGPU.csdata,"",@progbits
; Kernel info:
; codeLenInByte = 664
; TotalNumSgprs: 18
; NumVgprs: 26
; NumAgprs: 0
; TotalNumVgprs: 26
; ScratchSize: 0
; MemoryBound: 0
; FloatMode: 240
; IeeeMode: 1
; LDSByteSize: 148 bytes/workgroup (compile time only)
; SGPRBlocks: 2
; VGPRBlocks: 3
; NumSGPRsForWavesPerEU: 18
; NumVGPRsForWavesPerEU: 26
; AccumOffset: 28
; Occupancy: 8
; WaveLimiterHint : 0
; COMPUTE_PGM_RSRC2:SCRATCH_EN: 0
; COMPUTE_PGM_RSRC2:USER_SGPR: 2
; COMPUTE_PGM_RSRC2:TRAP_HANDLER: 0
; COMPUTE_PGM_RSRC2:TGID_X_EN: 1
; COMPUTE_PGM_RSRC2:TGID_Y_EN: 0
; COMPUTE_PGM_RSRC2:TGID_Z_EN: 0
; COMPUTE_PGM_RSRC2:TIDIG_COMP_CNT: 0
; COMPUTE_PGM_RSRC3_GFX90A:ACCUM_OFFSET: 6
; COMPUTE_PGM_RSRC3_GFX90A:TG_SPLIT: 0
	.section	.text._ZN9rocsparseL49gtsv_nopivot_strided_batch_pcr_pow2_shared_kernelILj8EfEEviiiPKT0_S3_S3_PS1_,"axG",@progbits,_ZN9rocsparseL49gtsv_nopivot_strided_batch_pcr_pow2_shared_kernelILj8EfEEviiiPKT0_S3_S3_PS1_,comdat
	.globl	_ZN9rocsparseL49gtsv_nopivot_strided_batch_pcr_pow2_shared_kernelILj8EfEEviiiPKT0_S3_S3_PS1_ ; -- Begin function _ZN9rocsparseL49gtsv_nopivot_strided_batch_pcr_pow2_shared_kernelILj8EfEEviiiPKT0_S3_S3_PS1_
	.p2align	8
	.type	_ZN9rocsparseL49gtsv_nopivot_strided_batch_pcr_pow2_shared_kernelILj8EfEEviiiPKT0_S3_S3_PS1_,@function
_ZN9rocsparseL49gtsv_nopivot_strided_batch_pcr_pow2_shared_kernelILj8EfEEviiiPKT0_S3_S3_PS1_: ; @_ZN9rocsparseL49gtsv_nopivot_strided_batch_pcr_pow2_shared_kernelILj8EfEEviiiPKT0_S3_S3_PS1_
; %bb.0:
	s_load_dword s3, s[0:1], 0x8
	s_load_dwordx8 s[4:11], s[0:1], 0x10
	v_lshlrev_b32_e32 v1, 2, v0
	v_min_u32_e32 v10, 5, v0
	v_sub_u32_e64 v11, v0, 2 clamp
	s_waitcnt lgkmcnt(0)
	s_mul_i32 s3, s3, s2
	v_add_u32_e32 v2, s3, v0
	v_ashrrev_i32_e32 v3, 31, v2
	v_lshlrev_b64 v[2:3], 2, v[2:3]
	v_lshl_add_u64 v[4:5], s[4:5], 0, v[2:3]
	v_lshl_add_u64 v[6:7], s[6:7], 0, v[2:3]
	global_load_dword v8, v[4:5], off
	global_load_dword v9, v[6:7], off
	v_lshl_add_u64 v[4:5], s[8:9], 0, v[2:3]
	v_lshl_add_u64 v[2:3], s[10:11], 0, v[2:3]
	global_load_dword v4, v[4:5], off
	v_min_u32_e32 v6, 6, v0
	global_load_dword v5, v[2:3], off
	v_sub_u32_e64 v7, v0, 1 clamp
	v_lshlrev_b32_e32 v12, 2, v7
	v_lshlrev_b32_e32 v14, 2, v6
	;; [unrolled: 1-line block ×4, first 2 shown]
	s_waitcnt vmcnt(2)
	ds_write2_b32 v1, v8, v9 offset1:12
	s_waitcnt vmcnt(0)
	ds_write2_b32 v1, v4, v5 offset0:24 offset1:48
	s_waitcnt lgkmcnt(0)
	; wave barrier
	ds_read2_b32 v[4:5], v12 offset1:12
	ds_read2_b32 v[6:7], v1 offset1:12
	ds_read2_b32 v[8:9], v1 offset0:24 offset1:48
	ds_read2_b32 v[10:11], v14 offset0:1 offset1:13
	ds_read2_b32 v[12:13], v12 offset0:24 offset1:48
	ds_read2_b32 v[14:15], v14 offset0:25 offset1:49
	s_waitcnt lgkmcnt(4)
	v_div_scale_f32 v18, s[0:1], v5, v5, v6
	s_waitcnt lgkmcnt(2)
	v_div_scale_f32 v20, s[0:1], v11, v11, v8
	v_rcp_f32_e32 v21, v18
	v_rcp_f32_e32 v22, v20
	v_div_scale_f32 v19, vcc, v6, v5, v6
	v_fma_f32 v24, -v18, v21, 1.0
	v_fma_f32 v25, -v20, v22, 1.0
	v_fmac_f32_e32 v21, v24, v21
	v_div_scale_f32 v23, s[0:1], v8, v11, v8
	v_fmac_f32_e32 v22, v25, v22
	v_mul_f32_e32 v24, v19, v21
	v_mul_f32_e32 v25, v23, v22
	v_fma_f32 v26, -v18, v24, v19
	v_fma_f32 v27, -v20, v25, v23
	v_fmac_f32_e32 v24, v26, v21
	v_fmac_f32_e32 v25, v27, v22
	v_fma_f32 v18, -v18, v24, v19
	v_fma_f32 v19, -v20, v25, v23
	v_div_fmas_f32 v18, v18, v21, v24
	s_mov_b64 vcc, s[0:1]
	v_div_fixup_f32 v5, v18, v5, v6
	v_div_fmas_f32 v6, v19, v22, v25
	v_div_fixup_f32 v6, v6, v11, v8
	s_waitcnt lgkmcnt(1)
	v_fma_f32 v7, -v5, v12, v7
	v_fma_f32 v8, -v5, v13, v9
	v_mul_f32_e64 v4, v5, -v4
	v_fma_f32 v5, -v6, v10, v7
	s_waitcnt lgkmcnt(0)
	v_fma_f32 v7, -v6, v15, v8
	v_mul_f32_e64 v6, v6, -v14
	; wave barrier
	ds_write2_b32 v1, v4, v5 offset1:12
	ds_write2_b32 v1, v6, v7 offset0:24 offset1:48
	s_waitcnt lgkmcnt(0)
	; wave barrier
	ds_read2_b32 v[4:5], v16 offset1:12
	ds_read2_b32 v[6:7], v1 offset1:12
	ds_read2_b32 v[8:9], v1 offset0:24 offset1:48
	ds_read2_b32 v[10:11], v17 offset0:2 offset1:14
	;; [unrolled: 1-line block ×4, first 2 shown]
	s_waitcnt lgkmcnt(4)
	v_div_scale_f32 v16, s[0:1], v5, v5, v6
	s_waitcnt lgkmcnt(2)
	v_div_scale_f32 v18, s[0:1], v11, v11, v8
	v_rcp_f32_e32 v19, v16
	v_rcp_f32_e32 v20, v18
	v_div_scale_f32 v17, vcc, v6, v5, v6
	v_fma_f32 v22, -v16, v19, 1.0
	v_fma_f32 v23, -v18, v20, 1.0
	v_fmac_f32_e32 v19, v22, v19
	v_div_scale_f32 v21, s[0:1], v8, v11, v8
	v_fmac_f32_e32 v20, v23, v20
	v_mul_f32_e32 v22, v17, v19
	v_mul_f32_e32 v23, v21, v20
	v_fma_f32 v24, -v16, v22, v17
	v_fma_f32 v25, -v18, v23, v21
	v_fmac_f32_e32 v22, v24, v19
	v_fmac_f32_e32 v23, v25, v20
	v_fma_f32 v16, -v16, v22, v17
	v_fma_f32 v17, -v18, v23, v21
	v_div_fmas_f32 v16, v16, v19, v22
	s_mov_b64 vcc, s[0:1]
	v_div_fixup_f32 v5, v16, v5, v6
	v_div_fmas_f32 v6, v17, v20, v23
	v_div_fixup_f32 v6, v6, v11, v8
	s_waitcnt lgkmcnt(1)
	v_fma_f32 v7, -v5, v12, v7
	v_fma_f32 v8, -v5, v13, v9
	v_mul_f32_e64 v4, v5, -v4
	v_fma_f32 v5, -v6, v10, v7
	v_cmp_gt_u32_e32 vcc, 4, v0
	s_waitcnt lgkmcnt(0)
	; wave barrier
	v_fma_f32 v7, -v6, v15, v8
	v_mul_f32_e64 v6, v6, -v14
	ds_write2_b32 v1, v4, v5 offset1:12
	ds_write2_b32 v1, v6, v7 offset0:24 offset1:48
	s_waitcnt lgkmcnt(0)
	; wave barrier
	s_and_saveexec_b64 s[0:1], vcc
	s_cbranch_execz .LBB2_2
; %bb.1:
	v_or_b32_e32 v4, 0x60, v1
	v_add_u32_e32 v0, 48, v1
	ds_read_b32 v8, v4
	ds_read_b32 v9, v1 offset:16
	ds_read2_b32 v[4:5], v0 offset1:4
	v_or_b32_e32 v6, 0xc0, v1
	s_waitcnt lgkmcnt(1)
	v_mul_f32_e32 v0, v8, v9
	s_waitcnt lgkmcnt(0)
	v_fma_f32 v0, v5, v4, -v0
	v_div_scale_f32 v10, s[2:3], v0, v0, 1.0
	v_rcp_f32_e32 v11, v10
	v_div_scale_f32 v12, vcc, 1.0, v0, 1.0
	v_fma_f32 v7, -v10, v11, 1.0
	v_fmac_f32_e32 v11, v7, v11
	v_mul_f32_e32 v13, v12, v11
	v_fma_f32 v7, -v10, v13, v12
	v_fmac_f32_e32 v13, v7, v11
	ds_read2_b32 v[6:7], v6 offset1:4
	v_fma_f32 v10, -v10, v13, v12
	v_div_fmas_f32 v10, v10, v11, v13
	v_div_fixup_f32 v0, v10, v0, 1.0
	s_waitcnt lgkmcnt(0)
	v_mul_f32_e32 v8, v8, v7
	v_fma_f32 v5, v5, v6, -v8
	v_mul_f32_e32 v6, v9, v6
	v_fma_f32 v4, v4, v7, -v6
	v_mul_f32_e32 v5, v0, v5
	v_mul_f32_e32 v0, v0, v4
	ds_write2_b32 v1, v5, v0 offset0:36 offset1:40
.LBB2_2:
	s_or_b64 exec, exec, s[0:1]
	s_waitcnt lgkmcnt(0)
	; wave barrier
	ds_read_b32 v0, v1 offset:144
	s_waitcnt lgkmcnt(0)
	global_store_dword v[2:3], v0, off
	s_endpgm
	.section	.rodata,"a",@progbits
	.p2align	6, 0x0
	.amdhsa_kernel _ZN9rocsparseL49gtsv_nopivot_strided_batch_pcr_pow2_shared_kernelILj8EfEEviiiPKT0_S3_S3_PS1_
		.amdhsa_group_segment_fixed_size 228
		.amdhsa_private_segment_fixed_size 0
		.amdhsa_kernarg_size 48
		.amdhsa_user_sgpr_count 2
		.amdhsa_user_sgpr_dispatch_ptr 0
		.amdhsa_user_sgpr_queue_ptr 0
		.amdhsa_user_sgpr_kernarg_segment_ptr 1
		.amdhsa_user_sgpr_dispatch_id 0
		.amdhsa_user_sgpr_kernarg_preload_length 0
		.amdhsa_user_sgpr_kernarg_preload_offset 0
		.amdhsa_user_sgpr_private_segment_size 0
		.amdhsa_uses_dynamic_stack 0
		.amdhsa_enable_private_segment 0
		.amdhsa_system_sgpr_workgroup_id_x 1
		.amdhsa_system_sgpr_workgroup_id_y 0
		.amdhsa_system_sgpr_workgroup_id_z 0
		.amdhsa_system_sgpr_workgroup_info 0
		.amdhsa_system_vgpr_workitem_id 0
		.amdhsa_next_free_vgpr 28
		.amdhsa_next_free_sgpr 12
		.amdhsa_accum_offset 28
		.amdhsa_reserve_vcc 1
		.amdhsa_float_round_mode_32 0
		.amdhsa_float_round_mode_16_64 0
		.amdhsa_float_denorm_mode_32 3
		.amdhsa_float_denorm_mode_16_64 3
		.amdhsa_dx10_clamp 1
		.amdhsa_ieee_mode 1
		.amdhsa_fp16_overflow 0
		.amdhsa_tg_split 0
		.amdhsa_exception_fp_ieee_invalid_op 0
		.amdhsa_exception_fp_denorm_src 0
		.amdhsa_exception_fp_ieee_div_zero 0
		.amdhsa_exception_fp_ieee_overflow 0
		.amdhsa_exception_fp_ieee_underflow 0
		.amdhsa_exception_fp_ieee_inexact 0
		.amdhsa_exception_int_div_zero 0
	.end_amdhsa_kernel
	.section	.text._ZN9rocsparseL49gtsv_nopivot_strided_batch_pcr_pow2_shared_kernelILj8EfEEviiiPKT0_S3_S3_PS1_,"axG",@progbits,_ZN9rocsparseL49gtsv_nopivot_strided_batch_pcr_pow2_shared_kernelILj8EfEEviiiPKT0_S3_S3_PS1_,comdat
.Lfunc_end2:
	.size	_ZN9rocsparseL49gtsv_nopivot_strided_batch_pcr_pow2_shared_kernelILj8EfEEviiiPKT0_S3_S3_PS1_, .Lfunc_end2-_ZN9rocsparseL49gtsv_nopivot_strided_batch_pcr_pow2_shared_kernelILj8EfEEviiiPKT0_S3_S3_PS1_
                                        ; -- End function
	.set _ZN9rocsparseL49gtsv_nopivot_strided_batch_pcr_pow2_shared_kernelILj8EfEEviiiPKT0_S3_S3_PS1_.num_vgpr, 28
	.set _ZN9rocsparseL49gtsv_nopivot_strided_batch_pcr_pow2_shared_kernelILj8EfEEviiiPKT0_S3_S3_PS1_.num_agpr, 0
	.set _ZN9rocsparseL49gtsv_nopivot_strided_batch_pcr_pow2_shared_kernelILj8EfEEviiiPKT0_S3_S3_PS1_.numbered_sgpr, 12
	.set _ZN9rocsparseL49gtsv_nopivot_strided_batch_pcr_pow2_shared_kernelILj8EfEEviiiPKT0_S3_S3_PS1_.num_named_barrier, 0
	.set _ZN9rocsparseL49gtsv_nopivot_strided_batch_pcr_pow2_shared_kernelILj8EfEEviiiPKT0_S3_S3_PS1_.private_seg_size, 0
	.set _ZN9rocsparseL49gtsv_nopivot_strided_batch_pcr_pow2_shared_kernelILj8EfEEviiiPKT0_S3_S3_PS1_.uses_vcc, 1
	.set _ZN9rocsparseL49gtsv_nopivot_strided_batch_pcr_pow2_shared_kernelILj8EfEEviiiPKT0_S3_S3_PS1_.uses_flat_scratch, 0
	.set _ZN9rocsparseL49gtsv_nopivot_strided_batch_pcr_pow2_shared_kernelILj8EfEEviiiPKT0_S3_S3_PS1_.has_dyn_sized_stack, 0
	.set _ZN9rocsparseL49gtsv_nopivot_strided_batch_pcr_pow2_shared_kernelILj8EfEEviiiPKT0_S3_S3_PS1_.has_recursion, 0
	.set _ZN9rocsparseL49gtsv_nopivot_strided_batch_pcr_pow2_shared_kernelILj8EfEEviiiPKT0_S3_S3_PS1_.has_indirect_call, 0
	.section	.AMDGPU.csdata,"",@progbits
; Kernel info:
; codeLenInByte = 968
; TotalNumSgprs: 18
; NumVgprs: 28
; NumAgprs: 0
; TotalNumVgprs: 28
; ScratchSize: 0
; MemoryBound: 0
; FloatMode: 240
; IeeeMode: 1
; LDSByteSize: 228 bytes/workgroup (compile time only)
; SGPRBlocks: 2
; VGPRBlocks: 3
; NumSGPRsForWavesPerEU: 18
; NumVGPRsForWavesPerEU: 28
; AccumOffset: 28
; Occupancy: 8
; WaveLimiterHint : 0
; COMPUTE_PGM_RSRC2:SCRATCH_EN: 0
; COMPUTE_PGM_RSRC2:USER_SGPR: 2
; COMPUTE_PGM_RSRC2:TRAP_HANDLER: 0
; COMPUTE_PGM_RSRC2:TGID_X_EN: 1
; COMPUTE_PGM_RSRC2:TGID_Y_EN: 0
; COMPUTE_PGM_RSRC2:TGID_Z_EN: 0
; COMPUTE_PGM_RSRC2:TIDIG_COMP_CNT: 0
; COMPUTE_PGM_RSRC3_GFX90A:ACCUM_OFFSET: 6
; COMPUTE_PGM_RSRC3_GFX90A:TG_SPLIT: 0
	.section	.text._ZN9rocsparseL49gtsv_nopivot_strided_batch_pcr_pow2_shared_kernelILj16EfEEviiiPKT0_S3_S3_PS1_,"axG",@progbits,_ZN9rocsparseL49gtsv_nopivot_strided_batch_pcr_pow2_shared_kernelILj16EfEEviiiPKT0_S3_S3_PS1_,comdat
	.globl	_ZN9rocsparseL49gtsv_nopivot_strided_batch_pcr_pow2_shared_kernelILj16EfEEviiiPKT0_S3_S3_PS1_ ; -- Begin function _ZN9rocsparseL49gtsv_nopivot_strided_batch_pcr_pow2_shared_kernelILj16EfEEviiiPKT0_S3_S3_PS1_
	.p2align	8
	.type	_ZN9rocsparseL49gtsv_nopivot_strided_batch_pcr_pow2_shared_kernelILj16EfEEviiiPKT0_S3_S3_PS1_,@function
_ZN9rocsparseL49gtsv_nopivot_strided_batch_pcr_pow2_shared_kernelILj16EfEEviiiPKT0_S3_S3_PS1_: ; @_ZN9rocsparseL49gtsv_nopivot_strided_batch_pcr_pow2_shared_kernelILj16EfEEviiiPKT0_S3_S3_PS1_
; %bb.0:
	s_load_dword s3, s[0:1], 0x8
	s_load_dwordx8 s[4:11], s[0:1], 0x10
	v_lshlrev_b32_e32 v1, 2, v0
	v_min_u32_e32 v10, 13, v0
	v_sub_u32_e64 v11, v0, 2 clamp
	s_waitcnt lgkmcnt(0)
	s_mul_i32 s3, s3, s2
	v_add_u32_e32 v2, s3, v0
	v_ashrrev_i32_e32 v3, 31, v2
	v_lshlrev_b64 v[2:3], 2, v[2:3]
	v_lshl_add_u64 v[4:5], s[4:5], 0, v[2:3]
	v_lshl_add_u64 v[6:7], s[6:7], 0, v[2:3]
	global_load_dword v8, v[4:5], off
	global_load_dword v9, v[6:7], off
	v_lshl_add_u64 v[4:5], s[8:9], 0, v[2:3]
	v_lshl_add_u64 v[2:3], s[10:11], 0, v[2:3]
	global_load_dword v4, v[4:5], off
	v_min_u32_e32 v6, 14, v0
	global_load_dword v5, v[2:3], off
	v_sub_u32_e64 v7, v0, 1 clamp
	v_min_u32_e32 v12, 11, v0
	v_sub_u32_e64 v13, v0, 4 clamp
	v_lshlrev_b32_e32 v14, 2, v7
	v_lshlrev_b32_e32 v15, 2, v6
	;; [unrolled: 1-line block ×6, first 2 shown]
	s_waitcnt vmcnt(2)
	ds_write2_b32 v1, v8, v9 offset1:20
	s_waitcnt vmcnt(0)
	ds_write2_b32 v1, v4, v5 offset0:40 offset1:80
	s_waitcnt lgkmcnt(0)
	; wave barrier
	ds_read2_b32 v[4:5], v1 offset1:20
	ds_read2_b32 v[6:7], v14 offset1:20
	ds_read2_b32 v[8:9], v1 offset0:40 offset1:80
	ds_read2_b32 v[10:11], v15 offset0:1 offset1:21
	;; [unrolled: 1-line block ×4, first 2 shown]
	s_waitcnt lgkmcnt(4)
	v_div_scale_f32 v20, s[0:1], v7, v7, v4
	s_waitcnt lgkmcnt(2)
	v_div_scale_f32 v22, s[0:1], v11, v11, v8
	v_rcp_f32_e32 v23, v20
	v_rcp_f32_e32 v24, v22
	v_div_scale_f32 v21, vcc, v4, v7, v4
	v_fma_f32 v26, -v20, v23, 1.0
	v_fma_f32 v27, -v22, v24, 1.0
	v_fmac_f32_e32 v23, v26, v23
	v_div_scale_f32 v25, s[0:1], v8, v11, v8
	v_fmac_f32_e32 v24, v27, v24
	v_mul_f32_e32 v26, v21, v23
	v_mul_f32_e32 v27, v25, v24
	v_fma_f32 v28, -v20, v26, v21
	v_fma_f32 v29, -v22, v27, v25
	v_fmac_f32_e32 v26, v28, v23
	v_fmac_f32_e32 v27, v29, v24
	v_fma_f32 v20, -v20, v26, v21
	v_fma_f32 v21, -v22, v27, v25
	v_div_fmas_f32 v20, v20, v23, v26
	s_mov_b64 vcc, s[0:1]
	v_div_fixup_f32 v4, v20, v7, v4
	v_div_fmas_f32 v7, v21, v24, v27
	v_div_fixup_f32 v7, v7, v11, v8
	s_waitcnt lgkmcnt(1)
	v_fma_f32 v5, -v4, v12, v5
	v_fma_f32 v8, -v4, v13, v9
	v_mul_f32_e64 v4, v4, -v6
	v_fma_f32 v5, -v7, v10, v5
	s_waitcnt lgkmcnt(0)
	v_fma_f32 v6, -v7, v15, v8
	v_mul_f32_e64 v7, v7, -v14
	; wave barrier
	ds_write2_b32 v1, v4, v5 offset1:20
	ds_write2_b32 v1, v7, v6 offset0:40 offset1:80
	s_waitcnt lgkmcnt(0)
	; wave barrier
	ds_read2_b32 v[4:5], v1 offset1:20
	ds_read2_b32 v[6:7], v16 offset1:20
	ds_read2_b32 v[8:9], v1 offset0:40 offset1:80
	ds_read2_b32 v[10:11], v17 offset0:2 offset1:22
	;; [unrolled: 1-line block ×4, first 2 shown]
	s_waitcnt lgkmcnt(4)
	v_div_scale_f32 v16, s[0:1], v7, v7, v4
	s_waitcnt lgkmcnt(2)
	v_div_scale_f32 v20, s[0:1], v11, v11, v8
	v_rcp_f32_e32 v21, v16
	v_rcp_f32_e32 v22, v20
	v_div_scale_f32 v17, vcc, v4, v7, v4
	v_fma_f32 v24, -v16, v21, 1.0
	v_fma_f32 v25, -v20, v22, 1.0
	v_fmac_f32_e32 v21, v24, v21
	v_div_scale_f32 v23, s[0:1], v8, v11, v8
	v_fmac_f32_e32 v22, v25, v22
	v_mul_f32_e32 v24, v17, v21
	v_mul_f32_e32 v25, v23, v22
	v_fma_f32 v26, -v16, v24, v17
	v_fma_f32 v27, -v20, v25, v23
	v_fmac_f32_e32 v24, v26, v21
	v_fmac_f32_e32 v25, v27, v22
	v_fma_f32 v16, -v16, v24, v17
	v_fma_f32 v17, -v20, v25, v23
	v_div_fmas_f32 v16, v16, v21, v24
	s_mov_b64 vcc, s[0:1]
	v_div_fixup_f32 v4, v16, v7, v4
	v_div_fmas_f32 v7, v17, v22, v25
	v_div_fixup_f32 v7, v7, v11, v8
	s_waitcnt lgkmcnt(1)
	v_fma_f32 v5, -v4, v12, v5
	v_fma_f32 v8, -v4, v13, v9
	v_mul_f32_e64 v4, v4, -v6
	v_fma_f32 v5, -v7, v10, v5
	s_waitcnt lgkmcnt(0)
	v_fma_f32 v6, -v7, v15, v8
	v_mul_f32_e64 v7, v7, -v14
	; wave barrier
	ds_write2_b32 v1, v4, v5 offset1:20
	ds_write2_b32 v1, v7, v6 offset0:40 offset1:80
	s_waitcnt lgkmcnt(0)
	; wave barrier
	ds_read2_b32 v[4:5], v1 offset1:20
	ds_read2_b32 v[6:7], v18 offset1:20
	ds_read2_b32 v[8:9], v1 offset0:40 offset1:80
	ds_read2_b32 v[10:11], v19 offset0:4 offset1:24
	s_waitcnt lgkmcnt(2)
	v_div_scale_f32 v12, s[0:1], v7, v7, v4
	v_rcp_f32_e32 v14, v12
	s_waitcnt lgkmcnt(0)
	v_div_scale_f32 v13, s[0:1], v11, v11, v8
	v_rcp_f32_e32 v15, v13
	v_fma_f32 v17, -v12, v14, 1.0
	v_div_scale_f32 v16, vcc, v4, v7, v4
	v_fmac_f32_e32 v14, v17, v14
	v_fma_f32 v20, -v13, v15, 1.0
	v_mul_f32_e32 v17, v16, v14
	v_fmac_f32_e32 v15, v20, v15
	v_fma_f32 v20, -v12, v17, v16
	v_fmac_f32_e32 v17, v20, v14
	v_fma_f32 v12, -v12, v17, v16
	v_div_fmas_f32 v12, v12, v14, v17
	v_div_fixup_f32 v4, v12, v7, v4
	v_div_scale_f32 v7, vcc, v8, v11, v8
	v_mul_f32_e32 v14, v7, v15
	v_fma_f32 v12, -v13, v14, v7
	v_fmac_f32_e32 v14, v12, v15
	v_fma_f32 v7, -v13, v14, v7
	ds_read2_b32 v[12:13], v18 offset0:40 offset1:80
	v_div_fmas_f32 v7, v7, v15, v14
	ds_read2_b32 v[14:15], v19 offset0:44 offset1:84
	v_div_fixup_f32 v7, v7, v11, v8
	v_cmp_gt_u32_e32 vcc, 8, v0
	s_waitcnt lgkmcnt(1)
	v_fma_f32 v5, -v4, v12, v5
	v_fma_f32 v5, -v7, v10, v5
	;; [unrolled: 1-line block ×3, first 2 shown]
	v_mul_f32_e64 v4, v4, -v6
	s_waitcnt lgkmcnt(0)
	v_fma_f32 v8, -v7, v15, v8
	v_mul_f32_e64 v6, v7, -v14
	; wave barrier
	ds_write2_b32 v1, v4, v5 offset1:20
	ds_write2_b32 v1, v6, v8 offset0:40 offset1:80
	s_waitcnt lgkmcnt(0)
	; wave barrier
	s_and_saveexec_b64 s[0:1], vcc
	s_cbranch_execz .LBB3_2
; %bb.1:
	v_add_u32_e32 v4, 0xa0, v1
	v_add_u32_e32 v0, 0x50, v1
	ds_read_b32 v8, v4
	ds_read_b32 v9, v1 offset:32
	ds_read2_b32 v[4:5], v0 offset1:8
	v_or_b32_e32 v6, 0x140, v1
	s_waitcnt lgkmcnt(1)
	v_mul_f32_e32 v0, v8, v9
	s_waitcnt lgkmcnt(0)
	v_fma_f32 v0, v5, v4, -v0
	v_div_scale_f32 v10, s[2:3], v0, v0, 1.0
	v_rcp_f32_e32 v11, v10
	v_div_scale_f32 v12, vcc, 1.0, v0, 1.0
	v_fma_f32 v7, -v10, v11, 1.0
	v_fmac_f32_e32 v11, v7, v11
	v_mul_f32_e32 v13, v12, v11
	v_fma_f32 v7, -v10, v13, v12
	v_fmac_f32_e32 v13, v7, v11
	ds_read2_b32 v[6:7], v6 offset1:8
	v_fma_f32 v10, -v10, v13, v12
	v_div_fmas_f32 v10, v10, v11, v13
	v_div_fixup_f32 v0, v10, v0, 1.0
	s_waitcnt lgkmcnt(0)
	v_mul_f32_e32 v8, v8, v7
	v_fma_f32 v5, v5, v6, -v8
	v_mul_f32_e32 v6, v9, v6
	v_fma_f32 v4, v4, v7, -v6
	v_mul_f32_e32 v5, v0, v5
	v_mul_f32_e32 v0, v0, v4
	ds_write2_b32 v1, v5, v0 offset0:60 offset1:68
.LBB3_2:
	s_or_b64 exec, exec, s[0:1]
	s_waitcnt lgkmcnt(0)
	; wave barrier
	ds_read_b32 v0, v1 offset:240
	s_waitcnt lgkmcnt(0)
	global_store_dword v[2:3], v0, off
	s_endpgm
	.section	.rodata,"a",@progbits
	.p2align	6, 0x0
	.amdhsa_kernel _ZN9rocsparseL49gtsv_nopivot_strided_batch_pcr_pow2_shared_kernelILj16EfEEviiiPKT0_S3_S3_PS1_
		.amdhsa_group_segment_fixed_size 388
		.amdhsa_private_segment_fixed_size 0
		.amdhsa_kernarg_size 48
		.amdhsa_user_sgpr_count 2
		.amdhsa_user_sgpr_dispatch_ptr 0
		.amdhsa_user_sgpr_queue_ptr 0
		.amdhsa_user_sgpr_kernarg_segment_ptr 1
		.amdhsa_user_sgpr_dispatch_id 0
		.amdhsa_user_sgpr_kernarg_preload_length 0
		.amdhsa_user_sgpr_kernarg_preload_offset 0
		.amdhsa_user_sgpr_private_segment_size 0
		.amdhsa_uses_dynamic_stack 0
		.amdhsa_enable_private_segment 0
		.amdhsa_system_sgpr_workgroup_id_x 1
		.amdhsa_system_sgpr_workgroup_id_y 0
		.amdhsa_system_sgpr_workgroup_id_z 0
		.amdhsa_system_sgpr_workgroup_info 0
		.amdhsa_system_vgpr_workitem_id 0
		.amdhsa_next_free_vgpr 30
		.amdhsa_next_free_sgpr 12
		.amdhsa_accum_offset 32
		.amdhsa_reserve_vcc 1
		.amdhsa_float_round_mode_32 0
		.amdhsa_float_round_mode_16_64 0
		.amdhsa_float_denorm_mode_32 3
		.amdhsa_float_denorm_mode_16_64 3
		.amdhsa_dx10_clamp 1
		.amdhsa_ieee_mode 1
		.amdhsa_fp16_overflow 0
		.amdhsa_tg_split 0
		.amdhsa_exception_fp_ieee_invalid_op 0
		.amdhsa_exception_fp_denorm_src 0
		.amdhsa_exception_fp_ieee_div_zero 0
		.amdhsa_exception_fp_ieee_overflow 0
		.amdhsa_exception_fp_ieee_underflow 0
		.amdhsa_exception_fp_ieee_inexact 0
		.amdhsa_exception_int_div_zero 0
	.end_amdhsa_kernel
	.section	.text._ZN9rocsparseL49gtsv_nopivot_strided_batch_pcr_pow2_shared_kernelILj16EfEEviiiPKT0_S3_S3_PS1_,"axG",@progbits,_ZN9rocsparseL49gtsv_nopivot_strided_batch_pcr_pow2_shared_kernelILj16EfEEviiiPKT0_S3_S3_PS1_,comdat
.Lfunc_end3:
	.size	_ZN9rocsparseL49gtsv_nopivot_strided_batch_pcr_pow2_shared_kernelILj16EfEEviiiPKT0_S3_S3_PS1_, .Lfunc_end3-_ZN9rocsparseL49gtsv_nopivot_strided_batch_pcr_pow2_shared_kernelILj16EfEEviiiPKT0_S3_S3_PS1_
                                        ; -- End function
	.set _ZN9rocsparseL49gtsv_nopivot_strided_batch_pcr_pow2_shared_kernelILj16EfEEviiiPKT0_S3_S3_PS1_.num_vgpr, 30
	.set _ZN9rocsparseL49gtsv_nopivot_strided_batch_pcr_pow2_shared_kernelILj16EfEEviiiPKT0_S3_S3_PS1_.num_agpr, 0
	.set _ZN9rocsparseL49gtsv_nopivot_strided_batch_pcr_pow2_shared_kernelILj16EfEEviiiPKT0_S3_S3_PS1_.numbered_sgpr, 12
	.set _ZN9rocsparseL49gtsv_nopivot_strided_batch_pcr_pow2_shared_kernelILj16EfEEviiiPKT0_S3_S3_PS1_.num_named_barrier, 0
	.set _ZN9rocsparseL49gtsv_nopivot_strided_batch_pcr_pow2_shared_kernelILj16EfEEviiiPKT0_S3_S3_PS1_.private_seg_size, 0
	.set _ZN9rocsparseL49gtsv_nopivot_strided_batch_pcr_pow2_shared_kernelILj16EfEEviiiPKT0_S3_S3_PS1_.uses_vcc, 1
	.set _ZN9rocsparseL49gtsv_nopivot_strided_batch_pcr_pow2_shared_kernelILj16EfEEviiiPKT0_S3_S3_PS1_.uses_flat_scratch, 0
	.set _ZN9rocsparseL49gtsv_nopivot_strided_batch_pcr_pow2_shared_kernelILj16EfEEviiiPKT0_S3_S3_PS1_.has_dyn_sized_stack, 0
	.set _ZN9rocsparseL49gtsv_nopivot_strided_batch_pcr_pow2_shared_kernelILj16EfEEviiiPKT0_S3_S3_PS1_.has_recursion, 0
	.set _ZN9rocsparseL49gtsv_nopivot_strided_batch_pcr_pow2_shared_kernelILj16EfEEviiiPKT0_S3_S3_PS1_.has_indirect_call, 0
	.section	.AMDGPU.csdata,"",@progbits
; Kernel info:
; codeLenInByte = 1268
; TotalNumSgprs: 18
; NumVgprs: 30
; NumAgprs: 0
; TotalNumVgprs: 30
; ScratchSize: 0
; MemoryBound: 0
; FloatMode: 240
; IeeeMode: 1
; LDSByteSize: 388 bytes/workgroup (compile time only)
; SGPRBlocks: 2
; VGPRBlocks: 3
; NumSGPRsForWavesPerEU: 18
; NumVGPRsForWavesPerEU: 30
; AccumOffset: 32
; Occupancy: 8
; WaveLimiterHint : 0
; COMPUTE_PGM_RSRC2:SCRATCH_EN: 0
; COMPUTE_PGM_RSRC2:USER_SGPR: 2
; COMPUTE_PGM_RSRC2:TRAP_HANDLER: 0
; COMPUTE_PGM_RSRC2:TGID_X_EN: 1
; COMPUTE_PGM_RSRC2:TGID_Y_EN: 0
; COMPUTE_PGM_RSRC2:TGID_Z_EN: 0
; COMPUTE_PGM_RSRC2:TIDIG_COMP_CNT: 0
; COMPUTE_PGM_RSRC3_GFX90A:ACCUM_OFFSET: 7
; COMPUTE_PGM_RSRC3_GFX90A:TG_SPLIT: 0
	.section	.text._ZN9rocsparseL49gtsv_nopivot_strided_batch_pcr_pow2_shared_kernelILj32EfEEviiiPKT0_S3_S3_PS1_,"axG",@progbits,_ZN9rocsparseL49gtsv_nopivot_strided_batch_pcr_pow2_shared_kernelILj32EfEEviiiPKT0_S3_S3_PS1_,comdat
	.globl	_ZN9rocsparseL49gtsv_nopivot_strided_batch_pcr_pow2_shared_kernelILj32EfEEviiiPKT0_S3_S3_PS1_ ; -- Begin function _ZN9rocsparseL49gtsv_nopivot_strided_batch_pcr_pow2_shared_kernelILj32EfEEviiiPKT0_S3_S3_PS1_
	.p2align	8
	.type	_ZN9rocsparseL49gtsv_nopivot_strided_batch_pcr_pow2_shared_kernelILj32EfEEviiiPKT0_S3_S3_PS1_,@function
_ZN9rocsparseL49gtsv_nopivot_strided_batch_pcr_pow2_shared_kernelILj32EfEEviiiPKT0_S3_S3_PS1_: ; @_ZN9rocsparseL49gtsv_nopivot_strided_batch_pcr_pow2_shared_kernelILj32EfEEviiiPKT0_S3_S3_PS1_
; %bb.0:
	s_load_dword s3, s[0:1], 0x8
	s_load_dwordx8 s[4:11], s[0:1], 0x10
	v_lshlrev_b32_e32 v1, 2, v0
	v_min_u32_e32 v10, 29, v0
	v_sub_u32_e64 v11, v0, 2 clamp
	s_waitcnt lgkmcnt(0)
	s_mul_i32 s3, s3, s2
	v_add_u32_e32 v2, s3, v0
	v_ashrrev_i32_e32 v3, 31, v2
	v_lshlrev_b64 v[2:3], 2, v[2:3]
	v_lshl_add_u64 v[4:5], s[4:5], 0, v[2:3]
	v_lshl_add_u64 v[6:7], s[6:7], 0, v[2:3]
	global_load_dword v8, v[4:5], off
	global_load_dword v9, v[6:7], off
	v_lshl_add_u64 v[4:5], s[8:9], 0, v[2:3]
	v_lshl_add_u64 v[2:3], s[10:11], 0, v[2:3]
	global_load_dword v4, v[4:5], off
	v_min_u32_e32 v6, 30, v0
	global_load_dword v5, v[2:3], off
	v_sub_u32_e64 v7, v0, 1 clamp
	v_min_u32_e32 v12, 27, v0
	v_sub_u32_e64 v13, v0, 4 clamp
	v_lshlrev_b32_e32 v14, 2, v7
	v_lshlrev_b32_e32 v15, 2, v6
	;; [unrolled: 1-line block ×6, first 2 shown]
	s_waitcnt vmcnt(2)
	ds_write2_b32 v1, v8, v9 offset1:36
	s_waitcnt vmcnt(0)
	ds_write2_b32 v1, v4, v5 offset0:72 offset1:144
	s_waitcnt lgkmcnt(0)
	; wave barrier
	ds_read2_b32 v[4:5], v1 offset1:36
	ds_read2_b32 v[6:7], v14 offset1:36
	ds_read2_b32 v[8:9], v1 offset0:72 offset1:144
	ds_read2_b32 v[10:11], v15 offset0:1 offset1:37
	;; [unrolled: 1-line block ×4, first 2 shown]
	s_waitcnt lgkmcnt(4)
	v_div_scale_f32 v20, s[0:1], v7, v7, v4
	s_waitcnt lgkmcnt(2)
	v_div_scale_f32 v22, s[0:1], v11, v11, v8
	v_rcp_f32_e32 v23, v20
	v_rcp_f32_e32 v24, v22
	v_div_scale_f32 v21, vcc, v4, v7, v4
	v_fma_f32 v26, -v20, v23, 1.0
	v_fma_f32 v27, -v22, v24, 1.0
	v_fmac_f32_e32 v23, v26, v23
	v_div_scale_f32 v25, s[0:1], v8, v11, v8
	v_fmac_f32_e32 v24, v27, v24
	v_mul_f32_e32 v26, v21, v23
	v_mul_f32_e32 v27, v25, v24
	v_fma_f32 v28, -v20, v26, v21
	v_fma_f32 v29, -v22, v27, v25
	v_fmac_f32_e32 v26, v28, v23
	v_fmac_f32_e32 v27, v29, v24
	v_fma_f32 v20, -v20, v26, v21
	v_fma_f32 v21, -v22, v27, v25
	v_div_fmas_f32 v20, v20, v23, v26
	s_mov_b64 vcc, s[0:1]
	v_div_fixup_f32 v4, v20, v7, v4
	v_div_fmas_f32 v7, v21, v24, v27
	v_div_fixup_f32 v7, v7, v11, v8
	s_waitcnt lgkmcnt(1)
	v_fma_f32 v5, -v4, v12, v5
	v_fma_f32 v8, -v4, v13, v9
	v_mul_f32_e64 v4, v4, -v6
	v_fma_f32 v5, -v7, v10, v5
	s_waitcnt lgkmcnt(0)
	v_fma_f32 v6, -v7, v15, v8
	v_mul_f32_e64 v7, v7, -v14
	; wave barrier
	ds_write2_b32 v1, v4, v5 offset1:36
	ds_write2_b32 v1, v7, v6 offset0:72 offset1:144
	s_waitcnt lgkmcnt(0)
	; wave barrier
	ds_read2_b32 v[4:5], v1 offset1:36
	ds_read2_b32 v[6:7], v16 offset1:36
	ds_read2_b32 v[8:9], v1 offset0:72 offset1:144
	ds_read2_b32 v[10:11], v17 offset0:2 offset1:38
	;; [unrolled: 1-line block ×4, first 2 shown]
	s_waitcnt lgkmcnt(4)
	v_div_scale_f32 v16, s[0:1], v7, v7, v4
	s_waitcnt lgkmcnt(2)
	v_div_scale_f32 v20, s[0:1], v11, v11, v8
	v_rcp_f32_e32 v21, v16
	v_rcp_f32_e32 v22, v20
	v_div_scale_f32 v17, vcc, v4, v7, v4
	v_fma_f32 v24, -v16, v21, 1.0
	v_fma_f32 v25, -v20, v22, 1.0
	v_fmac_f32_e32 v21, v24, v21
	v_div_scale_f32 v23, s[0:1], v8, v11, v8
	v_fmac_f32_e32 v22, v25, v22
	v_mul_f32_e32 v24, v17, v21
	v_mul_f32_e32 v25, v23, v22
	v_fma_f32 v26, -v16, v24, v17
	v_fma_f32 v27, -v20, v25, v23
	v_fmac_f32_e32 v24, v26, v21
	v_fmac_f32_e32 v25, v27, v22
	v_fma_f32 v16, -v16, v24, v17
	v_fma_f32 v17, -v20, v25, v23
	v_div_fmas_f32 v16, v16, v21, v24
	s_mov_b64 vcc, s[0:1]
	v_div_fixup_f32 v4, v16, v7, v4
	v_div_fmas_f32 v7, v17, v22, v25
	v_div_fixup_f32 v7, v7, v11, v8
	s_waitcnt lgkmcnt(1)
	v_fma_f32 v5, -v4, v12, v5
	v_fma_f32 v8, -v4, v13, v9
	v_mul_f32_e64 v4, v4, -v6
	v_fma_f32 v5, -v7, v10, v5
	s_waitcnt lgkmcnt(0)
	v_fma_f32 v6, -v7, v15, v8
	v_mul_f32_e64 v7, v7, -v14
	; wave barrier
	ds_write2_b32 v1, v4, v5 offset1:36
	ds_write2_b32 v1, v7, v6 offset0:72 offset1:144
	s_waitcnt lgkmcnt(0)
	; wave barrier
	ds_read2_b32 v[4:5], v1 offset1:36
	ds_read2_b32 v[6:7], v18 offset1:36
	ds_read2_b32 v[8:9], v1 offset0:72 offset1:144
	ds_read2_b32 v[10:11], v19 offset0:4 offset1:40
	s_waitcnt lgkmcnt(2)
	v_div_scale_f32 v12, s[0:1], v7, v7, v4
	v_rcp_f32_e32 v14, v12
	s_waitcnt lgkmcnt(0)
	v_div_scale_f32 v13, s[0:1], v11, v11, v8
	v_rcp_f32_e32 v15, v13
	v_fma_f32 v17, -v12, v14, 1.0
	v_div_scale_f32 v16, vcc, v4, v7, v4
	v_fmac_f32_e32 v14, v17, v14
	v_fma_f32 v20, -v13, v15, 1.0
	v_mul_f32_e32 v17, v16, v14
	v_fmac_f32_e32 v15, v20, v15
	v_fma_f32 v20, -v12, v17, v16
	v_fmac_f32_e32 v17, v20, v14
	v_fma_f32 v12, -v12, v17, v16
	v_div_fmas_f32 v12, v12, v14, v17
	v_div_fixup_f32 v4, v12, v7, v4
	v_div_scale_f32 v7, vcc, v8, v11, v8
	v_mul_f32_e32 v14, v7, v15
	v_fma_f32 v12, -v13, v14, v7
	v_fmac_f32_e32 v14, v12, v15
	v_fma_f32 v7, -v13, v14, v7
	ds_read2_b32 v[12:13], v18 offset0:72 offset1:144
	v_div_fmas_f32 v7, v7, v15, v14
	ds_read2_b32 v[14:15], v19 offset0:76 offset1:148
	v_div_fixup_f32 v7, v7, v11, v8
	s_waitcnt lgkmcnt(0)
	v_fma_f32 v5, -v4, v12, v5
	v_fma_f32 v5, -v7, v10, v5
	;; [unrolled: 1-line block ×3, first 2 shown]
	v_mul_f32_e64 v4, v4, -v6
	v_mul_f32_e64 v6, v7, -v14
	v_fma_f32 v8, -v7, v15, v8
	; wave barrier
	ds_write2_b32 v1, v4, v5 offset1:36
	ds_write2_b32 v1, v6, v8 offset0:72 offset1:144
	v_sub_u32_e64 v6, v0, 8 clamp
	v_lshlrev_b32_e32 v12, 2, v6
	s_waitcnt lgkmcnt(0)
	; wave barrier
	ds_read2_b32 v[4:5], v1 offset1:36
	ds_read2_b32 v[6:7], v12 offset1:36
	v_min_u32_e32 v10, 23, v0
	v_lshlrev_b32_e32 v17, 2, v10
	ds_read2_b32 v[10:11], v17 offset0:8 offset1:44
	s_waitcnt lgkmcnt(1)
	v_div_scale_f32 v13, s[0:1], v7, v7, v4
	v_rcp_f32_e32 v14, v13
	v_div_scale_f32 v15, vcc, v4, v7, v4
	v_fma_f32 v8, -v13, v14, 1.0
	v_fmac_f32_e32 v14, v8, v14
	ds_read2_b32 v[8:9], v1 offset0:72 offset1:144
	v_mul_f32_e32 v16, v15, v14
	v_fma_f32 v18, -v13, v16, v15
	v_fmac_f32_e32 v16, v18, v14
	v_fma_f32 v13, -v13, v16, v15
	s_waitcnt lgkmcnt(0)
	v_div_scale_f32 v15, s[0:1], v11, v11, v8
	v_rcp_f32_e32 v18, v15
	v_div_fmas_f32 v13, v13, v14, v16
	v_div_fixup_f32 v4, v13, v7, v4
	v_fma_f32 v7, -v15, v18, 1.0
	v_fmac_f32_e32 v18, v7, v18
	v_div_scale_f32 v7, vcc, v8, v11, v8
	v_mul_f32_e32 v14, v7, v18
	v_fma_f32 v13, -v15, v14, v7
	v_fmac_f32_e32 v14, v13, v18
	ds_read2_b32 v[12:13], v12 offset0:72 offset1:144
	v_fma_f32 v7, -v15, v14, v7
	v_div_fmas_f32 v7, v7, v18, v14
	ds_read2_b32 v[14:15], v17 offset0:80 offset1:152
	v_div_fixup_f32 v7, v7, v11, v8
	s_waitcnt lgkmcnt(1)
	v_fma_f32 v5, -v4, v12, v5
	v_fma_f32 v5, -v7, v10, v5
	;; [unrolled: 1-line block ×3, first 2 shown]
	v_mul_f32_e64 v4, v4, -v6
	v_cmp_gt_u32_e32 vcc, 16, v0
	s_waitcnt lgkmcnt(0)
	v_fma_f32 v8, -v7, v15, v8
	v_mul_f32_e64 v6, v7, -v14
	; wave barrier
	ds_write2_b32 v1, v4, v5 offset1:36
	ds_write2_b32 v1, v6, v8 offset0:72 offset1:144
	s_waitcnt lgkmcnt(0)
	; wave barrier
	s_and_saveexec_b64 s[0:1], vcc
	s_cbranch_execz .LBB4_2
; %bb.1:
	v_add_u32_e32 v4, 0x120, v1
	v_add_u32_e32 v0, 0x90, v1
	ds_read_b32 v8, v4
	ds_read_b32 v9, v1 offset:64
	ds_read2_b32 v[4:5], v0 offset1:16
	v_add_u32_e32 v6, 0x240, v1
	s_waitcnt lgkmcnt(1)
	v_mul_f32_e32 v0, v8, v9
	s_waitcnt lgkmcnt(0)
	v_fma_f32 v0, v5, v4, -v0
	v_div_scale_f32 v10, s[2:3], v0, v0, 1.0
	v_rcp_f32_e32 v11, v10
	v_div_scale_f32 v12, vcc, 1.0, v0, 1.0
	v_fma_f32 v7, -v10, v11, 1.0
	v_fmac_f32_e32 v11, v7, v11
	v_mul_f32_e32 v13, v12, v11
	v_fma_f32 v7, -v10, v13, v12
	v_fmac_f32_e32 v13, v7, v11
	ds_read2_b32 v[6:7], v6 offset1:16
	v_fma_f32 v10, -v10, v13, v12
	v_div_fmas_f32 v10, v10, v11, v13
	v_div_fixup_f32 v0, v10, v0, 1.0
	s_waitcnt lgkmcnt(0)
	v_mul_f32_e32 v8, v8, v7
	v_fma_f32 v5, v5, v6, -v8
	v_mul_f32_e32 v6, v9, v6
	v_fma_f32 v4, v4, v7, -v6
	v_mul_f32_e32 v5, v0, v5
	v_mul_f32_e32 v0, v0, v4
	ds_write2_b32 v1, v5, v0 offset0:108 offset1:124
.LBB4_2:
	s_or_b64 exec, exec, s[0:1]
	s_waitcnt lgkmcnt(0)
	; wave barrier
	ds_read_b32 v0, v1 offset:432
	s_waitcnt lgkmcnt(0)
	global_store_dword v[2:3], v0, off
	s_endpgm
	.section	.rodata,"a",@progbits
	.p2align	6, 0x0
	.amdhsa_kernel _ZN9rocsparseL49gtsv_nopivot_strided_batch_pcr_pow2_shared_kernelILj32EfEEviiiPKT0_S3_S3_PS1_
		.amdhsa_group_segment_fixed_size 708
		.amdhsa_private_segment_fixed_size 0
		.amdhsa_kernarg_size 48
		.amdhsa_user_sgpr_count 2
		.amdhsa_user_sgpr_dispatch_ptr 0
		.amdhsa_user_sgpr_queue_ptr 0
		.amdhsa_user_sgpr_kernarg_segment_ptr 1
		.amdhsa_user_sgpr_dispatch_id 0
		.amdhsa_user_sgpr_kernarg_preload_length 0
		.amdhsa_user_sgpr_kernarg_preload_offset 0
		.amdhsa_user_sgpr_private_segment_size 0
		.amdhsa_uses_dynamic_stack 0
		.amdhsa_enable_private_segment 0
		.amdhsa_system_sgpr_workgroup_id_x 1
		.amdhsa_system_sgpr_workgroup_id_y 0
		.amdhsa_system_sgpr_workgroup_id_z 0
		.amdhsa_system_sgpr_workgroup_info 0
		.amdhsa_system_vgpr_workitem_id 0
		.amdhsa_next_free_vgpr 30
		.amdhsa_next_free_sgpr 12
		.amdhsa_accum_offset 32
		.amdhsa_reserve_vcc 1
		.amdhsa_float_round_mode_32 0
		.amdhsa_float_round_mode_16_64 0
		.amdhsa_float_denorm_mode_32 3
		.amdhsa_float_denorm_mode_16_64 3
		.amdhsa_dx10_clamp 1
		.amdhsa_ieee_mode 1
		.amdhsa_fp16_overflow 0
		.amdhsa_tg_split 0
		.amdhsa_exception_fp_ieee_invalid_op 0
		.amdhsa_exception_fp_denorm_src 0
		.amdhsa_exception_fp_ieee_div_zero 0
		.amdhsa_exception_fp_ieee_overflow 0
		.amdhsa_exception_fp_ieee_underflow 0
		.amdhsa_exception_fp_ieee_inexact 0
		.amdhsa_exception_int_div_zero 0
	.end_amdhsa_kernel
	.section	.text._ZN9rocsparseL49gtsv_nopivot_strided_batch_pcr_pow2_shared_kernelILj32EfEEviiiPKT0_S3_S3_PS1_,"axG",@progbits,_ZN9rocsparseL49gtsv_nopivot_strided_batch_pcr_pow2_shared_kernelILj32EfEEviiiPKT0_S3_S3_PS1_,comdat
.Lfunc_end4:
	.size	_ZN9rocsparseL49gtsv_nopivot_strided_batch_pcr_pow2_shared_kernelILj32EfEEviiiPKT0_S3_S3_PS1_, .Lfunc_end4-_ZN9rocsparseL49gtsv_nopivot_strided_batch_pcr_pow2_shared_kernelILj32EfEEviiiPKT0_S3_S3_PS1_
                                        ; -- End function
	.set _ZN9rocsparseL49gtsv_nopivot_strided_batch_pcr_pow2_shared_kernelILj32EfEEviiiPKT0_S3_S3_PS1_.num_vgpr, 30
	.set _ZN9rocsparseL49gtsv_nopivot_strided_batch_pcr_pow2_shared_kernelILj32EfEEviiiPKT0_S3_S3_PS1_.num_agpr, 0
	.set _ZN9rocsparseL49gtsv_nopivot_strided_batch_pcr_pow2_shared_kernelILj32EfEEviiiPKT0_S3_S3_PS1_.numbered_sgpr, 12
	.set _ZN9rocsparseL49gtsv_nopivot_strided_batch_pcr_pow2_shared_kernelILj32EfEEviiiPKT0_S3_S3_PS1_.num_named_barrier, 0
	.set _ZN9rocsparseL49gtsv_nopivot_strided_batch_pcr_pow2_shared_kernelILj32EfEEviiiPKT0_S3_S3_PS1_.private_seg_size, 0
	.set _ZN9rocsparseL49gtsv_nopivot_strided_batch_pcr_pow2_shared_kernelILj32EfEEviiiPKT0_S3_S3_PS1_.uses_vcc, 1
	.set _ZN9rocsparseL49gtsv_nopivot_strided_batch_pcr_pow2_shared_kernelILj32EfEEviiiPKT0_S3_S3_PS1_.uses_flat_scratch, 0
	.set _ZN9rocsparseL49gtsv_nopivot_strided_batch_pcr_pow2_shared_kernelILj32EfEEviiiPKT0_S3_S3_PS1_.has_dyn_sized_stack, 0
	.set _ZN9rocsparseL49gtsv_nopivot_strided_batch_pcr_pow2_shared_kernelILj32EfEEviiiPKT0_S3_S3_PS1_.has_recursion, 0
	.set _ZN9rocsparseL49gtsv_nopivot_strided_batch_pcr_pow2_shared_kernelILj32EfEEviiiPKT0_S3_S3_PS1_.has_indirect_call, 0
	.section	.AMDGPU.csdata,"",@progbits
; Kernel info:
; codeLenInByte = 1560
; TotalNumSgprs: 18
; NumVgprs: 30
; NumAgprs: 0
; TotalNumVgprs: 30
; ScratchSize: 0
; MemoryBound: 0
; FloatMode: 240
; IeeeMode: 1
; LDSByteSize: 708 bytes/workgroup (compile time only)
; SGPRBlocks: 2
; VGPRBlocks: 3
; NumSGPRsForWavesPerEU: 18
; NumVGPRsForWavesPerEU: 30
; AccumOffset: 32
; Occupancy: 8
; WaveLimiterHint : 0
; COMPUTE_PGM_RSRC2:SCRATCH_EN: 0
; COMPUTE_PGM_RSRC2:USER_SGPR: 2
; COMPUTE_PGM_RSRC2:TRAP_HANDLER: 0
; COMPUTE_PGM_RSRC2:TGID_X_EN: 1
; COMPUTE_PGM_RSRC2:TGID_Y_EN: 0
; COMPUTE_PGM_RSRC2:TGID_Z_EN: 0
; COMPUTE_PGM_RSRC2:TIDIG_COMP_CNT: 0
; COMPUTE_PGM_RSRC3_GFX90A:ACCUM_OFFSET: 7
; COMPUTE_PGM_RSRC3_GFX90A:TG_SPLIT: 0
	.section	.text._ZN9rocsparseL49gtsv_nopivot_strided_batch_pcr_pow2_shared_kernelILj64EfEEviiiPKT0_S3_S3_PS1_,"axG",@progbits,_ZN9rocsparseL49gtsv_nopivot_strided_batch_pcr_pow2_shared_kernelILj64EfEEviiiPKT0_S3_S3_PS1_,comdat
	.globl	_ZN9rocsparseL49gtsv_nopivot_strided_batch_pcr_pow2_shared_kernelILj64EfEEviiiPKT0_S3_S3_PS1_ ; -- Begin function _ZN9rocsparseL49gtsv_nopivot_strided_batch_pcr_pow2_shared_kernelILj64EfEEviiiPKT0_S3_S3_PS1_
	.p2align	8
	.type	_ZN9rocsparseL49gtsv_nopivot_strided_batch_pcr_pow2_shared_kernelILj64EfEEviiiPKT0_S3_S3_PS1_,@function
_ZN9rocsparseL49gtsv_nopivot_strided_batch_pcr_pow2_shared_kernelILj64EfEEviiiPKT0_S3_S3_PS1_: ; @_ZN9rocsparseL49gtsv_nopivot_strided_batch_pcr_pow2_shared_kernelILj64EfEEviiiPKT0_S3_S3_PS1_
; %bb.0:
	s_load_dword s3, s[0:1], 0x8
	s_load_dwordx8 s[4:11], s[0:1], 0x10
	v_sub_u32_e64 v12, v0, 4 clamp
	v_lshlrev_b32_e32 v1, 2, v0
	v_min_u32_e32 v10, 61, v0
	s_waitcnt lgkmcnt(0)
	s_mul_i32 s3, s3, s2
	v_add_u32_e32 v2, s3, v0
	v_ashrrev_i32_e32 v3, 31, v2
	v_lshlrev_b64 v[2:3], 2, v[2:3]
	v_lshl_add_u64 v[4:5], s[4:5], 0, v[2:3]
	v_lshl_add_u64 v[6:7], s[6:7], 0, v[2:3]
	global_load_dword v8, v[4:5], off
	global_load_dword v9, v[6:7], off
	v_lshl_add_u64 v[4:5], s[8:9], 0, v[2:3]
	v_lshl_add_u64 v[2:3], s[10:11], 0, v[2:3]
	global_load_dword v4, v[4:5], off
	v_min_u32_e32 v6, 62, v0
	global_load_dword v5, v[2:3], off
	v_sub_u32_e64 v7, v0, 1 clamp
	v_lshlrev_b32_e32 v7, 2, v7
	v_lshlrev_b32_e32 v13, 2, v6
	v_sub_u32_e64 v11, v0, 2 clamp
	v_lshlrev_b32_e32 v19, 2, v12
	v_add_u32_e32 v12, 0x200, v7
	v_add_u32_e32 v14, 0x200, v13
	;; [unrolled: 1-line block ×3, first 2 shown]
	v_lshlrev_b32_e32 v17, 2, v11
	v_lshlrev_b32_e32 v18, 2, v10
	v_add_u32_e32 v20, 0x200, v17
	v_add_u32_e32 v21, 0x200, v18
	s_waitcnt vmcnt(2)
	ds_write2_b32 v1, v8, v9 offset1:68
	s_waitcnt vmcnt(0)
	ds_write2_b32 v16, v4, v5 offset0:8 offset1:144
	s_waitcnt lgkmcnt(0)
	; wave barrier
	ds_read2_b32 v[4:5], v1 offset1:68
	ds_read2_b32 v[6:7], v7 offset1:68
	ds_read2_b32 v[8:9], v16 offset0:8 offset1:144
	ds_read2_b32 v[10:11], v13 offset0:1 offset1:69
	;; [unrolled: 1-line block ×4, first 2 shown]
	s_waitcnt lgkmcnt(4)
	v_div_scale_f32 v22, s[0:1], v7, v7, v4
	s_waitcnt lgkmcnt(2)
	v_div_scale_f32 v24, s[0:1], v11, v11, v8
	v_rcp_f32_e32 v25, v22
	v_rcp_f32_e32 v26, v24
	v_div_scale_f32 v23, vcc, v4, v7, v4
	v_fma_f32 v28, -v22, v25, 1.0
	v_fma_f32 v29, -v24, v26, 1.0
	v_fmac_f32_e32 v25, v28, v25
	v_div_scale_f32 v27, s[0:1], v8, v11, v8
	v_fmac_f32_e32 v26, v29, v26
	v_mul_f32_e32 v28, v23, v25
	v_mul_f32_e32 v29, v27, v26
	v_fma_f32 v30, -v22, v28, v23
	v_fma_f32 v31, -v24, v29, v27
	v_fmac_f32_e32 v28, v30, v25
	v_fmac_f32_e32 v29, v31, v26
	v_fma_f32 v22, -v22, v28, v23
	v_fma_f32 v23, -v24, v29, v27
	v_div_fmas_f32 v22, v22, v25, v28
	s_mov_b64 vcc, s[0:1]
	v_div_fixup_f32 v4, v22, v7, v4
	v_div_fmas_f32 v7, v23, v26, v29
	v_div_fixup_f32 v7, v7, v11, v8
	s_waitcnt lgkmcnt(1)
	v_fma_f32 v5, -v4, v12, v5
	v_fma_f32 v8, -v4, v13, v9
	v_mul_f32_e64 v4, v4, -v6
	v_fma_f32 v5, -v7, v10, v5
	s_waitcnt lgkmcnt(0)
	v_fma_f32 v6, -v7, v15, v8
	v_mul_f32_e64 v7, v7, -v14
	; wave barrier
	ds_write2_b32 v1, v4, v5 offset1:68
	ds_write2_b32 v16, v7, v6 offset0:8 offset1:144
	s_waitcnt lgkmcnt(0)
	; wave barrier
	ds_read2_b32 v[4:5], v1 offset1:68
	ds_read2_b32 v[6:7], v17 offset1:68
	ds_read2_b32 v[8:9], v16 offset0:8 offset1:144
	ds_read2_b32 v[10:11], v18 offset0:2 offset1:70
	;; [unrolled: 1-line block ×4, first 2 shown]
	s_waitcnt lgkmcnt(4)
	v_div_scale_f32 v17, s[0:1], v7, v7, v4
	s_waitcnt lgkmcnt(2)
	v_div_scale_f32 v20, s[0:1], v11, v11, v8
	v_rcp_f32_e32 v21, v17
	v_rcp_f32_e32 v22, v20
	v_div_scale_f32 v18, vcc, v4, v7, v4
	v_fma_f32 v24, -v17, v21, 1.0
	v_fma_f32 v25, -v20, v22, 1.0
	v_fmac_f32_e32 v21, v24, v21
	v_div_scale_f32 v23, s[0:1], v8, v11, v8
	v_fmac_f32_e32 v22, v25, v22
	v_mul_f32_e32 v24, v18, v21
	v_mul_f32_e32 v25, v23, v22
	v_fma_f32 v26, -v17, v24, v18
	v_fma_f32 v27, -v20, v25, v23
	v_fmac_f32_e32 v24, v26, v21
	v_fmac_f32_e32 v25, v27, v22
	v_fma_f32 v17, -v17, v24, v18
	v_fma_f32 v18, -v20, v25, v23
	v_div_fmas_f32 v17, v17, v21, v24
	s_mov_b64 vcc, s[0:1]
	v_div_fixup_f32 v4, v17, v7, v4
	v_div_fmas_f32 v7, v18, v22, v25
	v_div_fixup_f32 v7, v7, v11, v8
	s_waitcnt lgkmcnt(1)
	v_fma_f32 v5, -v4, v12, v5
	v_fma_f32 v8, -v4, v13, v9
	v_mul_f32_e64 v4, v4, -v6
	v_fma_f32 v5, -v7, v10, v5
	s_waitcnt lgkmcnt(0)
	v_fma_f32 v6, -v7, v15, v8
	v_mul_f32_e64 v7, v7, -v14
	; wave barrier
	ds_write2_b32 v1, v4, v5 offset1:68
	ds_write2_b32 v16, v7, v6 offset0:8 offset1:144
	s_waitcnt lgkmcnt(0)
	; wave barrier
	ds_read2_b32 v[4:5], v1 offset1:68
	ds_read2_b32 v[6:7], v19 offset1:68
	v_min_u32_e32 v8, 59, v0
	v_lshlrev_b32_e32 v14, 2, v8
	ds_read2_b32 v[8:9], v16 offset0:8 offset1:144
	ds_read2_b32 v[10:11], v14 offset0:4 offset1:72
	s_waitcnt lgkmcnt(2)
	v_div_scale_f32 v12, s[0:1], v7, v7, v4
	v_rcp_f32_e32 v13, v12
	v_div_scale_f32 v15, vcc, v4, v7, v4
	v_add_u32_e32 v14, 0x200, v14
	v_fma_f32 v17, -v12, v13, 1.0
	v_fmac_f32_e32 v13, v17, v13
	v_mul_f32_e32 v17, v15, v13
	v_fma_f32 v18, -v12, v17, v15
	v_fmac_f32_e32 v17, v18, v13
	v_fma_f32 v12, -v12, v17, v15
	s_waitcnt lgkmcnt(0)
	v_div_scale_f32 v15, s[0:1], v11, v11, v8
	v_rcp_f32_e32 v18, v15
	v_div_fmas_f32 v12, v12, v13, v17
	v_div_fixup_f32 v4, v12, v7, v4
	v_fma_f32 v7, -v15, v18, 1.0
	v_fmac_f32_e32 v18, v7, v18
	v_div_scale_f32 v7, vcc, v8, v11, v8
	v_mul_f32_e32 v17, v7, v18
	v_fma_f32 v12, -v15, v17, v7
	v_fmac_f32_e32 v17, v12, v18
	v_add_u32_e32 v12, 0x200, v19
	ds_read2_b32 v[12:13], v12 offset0:8 offset1:144
	v_fma_f32 v7, -v15, v17, v7
	ds_read2_b32 v[14:15], v14 offset0:12 offset1:148
	v_div_fmas_f32 v7, v7, v18, v17
	v_div_fixup_f32 v7, v7, v11, v8
	s_waitcnt lgkmcnt(1)
	v_fma_f32 v5, -v4, v12, v5
	v_fma_f32 v5, -v7, v10, v5
	;; [unrolled: 1-line block ×3, first 2 shown]
	v_mul_f32_e64 v4, v4, -v6
	s_waitcnt lgkmcnt(0)
	v_mul_f32_e64 v6, v7, -v14
	v_fma_f32 v8, -v7, v15, v8
	; wave barrier
	ds_write2_b32 v1, v4, v5 offset1:68
	ds_write2_b32 v16, v6, v8 offset0:8 offset1:144
	v_sub_u32_e64 v6, v0, 8 clamp
	v_lshlrev_b32_e32 v12, 2, v6
	s_waitcnt lgkmcnt(0)
	; wave barrier
	ds_read2_b32 v[4:5], v1 offset1:68
	ds_read2_b32 v[6:7], v12 offset1:68
	v_min_u32_e32 v10, 55, v0
	v_lshlrev_b32_e32 v18, 2, v10
	ds_read2_b32 v[10:11], v18 offset0:8 offset1:76
	v_add_u32_e32 v12, 0x200, v12
	s_waitcnt lgkmcnt(1)
	v_div_scale_f32 v13, s[0:1], v7, v7, v4
	v_rcp_f32_e32 v14, v13
	v_div_scale_f32 v15, vcc, v4, v7, v4
	v_fma_f32 v8, -v13, v14, 1.0
	v_fmac_f32_e32 v14, v8, v14
	ds_read2_b32 v[8:9], v16 offset0:8 offset1:144
	v_mul_f32_e32 v17, v15, v14
	v_fma_f32 v19, -v13, v17, v15
	v_fmac_f32_e32 v17, v19, v14
	v_fma_f32 v13, -v13, v17, v15
	s_waitcnt lgkmcnt(0)
	v_div_scale_f32 v15, s[0:1], v11, v11, v8
	v_rcp_f32_e32 v19, v15
	v_div_fmas_f32 v13, v13, v14, v17
	v_div_fixup_f32 v4, v13, v7, v4
	v_fma_f32 v7, -v15, v19, 1.0
	v_fmac_f32_e32 v19, v7, v19
	v_div_scale_f32 v7, vcc, v8, v11, v8
	v_mul_f32_e32 v14, v7, v19
	v_fma_f32 v13, -v15, v14, v7
	v_fmac_f32_e32 v14, v13, v19
	v_fma_f32 v7, -v15, v14, v7
	ds_read2_b32 v[12:13], v12 offset0:8 offset1:144
	v_div_fmas_f32 v7, v7, v19, v14
	v_add_u32_e32 v14, 0x200, v18
	ds_read2_b32 v[14:15], v14 offset0:16 offset1:152
	v_div_fixup_f32 v7, v7, v11, v8
	s_waitcnt lgkmcnt(1)
	v_fma_f32 v5, -v4, v12, v5
	v_fma_f32 v5, -v7, v10, v5
	;; [unrolled: 1-line block ×3, first 2 shown]
	v_mul_f32_e64 v4, v4, -v6
	s_waitcnt lgkmcnt(0)
	v_mul_f32_e64 v6, v7, -v14
	v_fma_f32 v8, -v7, v15, v8
	; wave barrier
	ds_write2_b32 v1, v4, v5 offset1:68
	ds_write2_b32 v16, v6, v8 offset0:8 offset1:144
	v_sub_u32_e64 v6, v0, 16 clamp
	v_lshlrev_b32_e32 v12, 2, v6
	s_waitcnt lgkmcnt(0)
	; wave barrier
	ds_read2_b32 v[4:5], v1 offset1:68
	ds_read2_b32 v[6:7], v12 offset1:68
	v_min_u32_e32 v10, 47, v0
	v_lshlrev_b32_e32 v18, 2, v10
	ds_read2_b32 v[10:11], v18 offset0:16 offset1:84
	v_add_u32_e32 v12, 0x200, v12
	s_waitcnt lgkmcnt(1)
	v_div_scale_f32 v13, s[0:1], v7, v7, v4
	v_rcp_f32_e32 v14, v13
	v_div_scale_f32 v15, vcc, v4, v7, v4
	v_fma_f32 v8, -v13, v14, 1.0
	v_fmac_f32_e32 v14, v8, v14
	ds_read2_b32 v[8:9], v16 offset0:8 offset1:144
	v_mul_f32_e32 v17, v15, v14
	v_fma_f32 v19, -v13, v17, v15
	v_fmac_f32_e32 v17, v19, v14
	v_fma_f32 v13, -v13, v17, v15
	s_waitcnt lgkmcnt(0)
	v_div_scale_f32 v15, s[0:1], v11, v11, v8
	v_rcp_f32_e32 v19, v15
	v_div_fmas_f32 v13, v13, v14, v17
	v_div_fixup_f32 v4, v13, v7, v4
	v_fma_f32 v7, -v15, v19, 1.0
	v_fmac_f32_e32 v19, v7, v19
	v_div_scale_f32 v7, vcc, v8, v11, v8
	v_mul_f32_e32 v14, v7, v19
	v_fma_f32 v13, -v15, v14, v7
	v_fmac_f32_e32 v14, v13, v19
	v_fma_f32 v7, -v15, v14, v7
	ds_read2_b32 v[12:13], v12 offset0:8 offset1:144
	v_div_fmas_f32 v7, v7, v19, v14
	v_add_u32_e32 v14, 0x200, v18
	ds_read2_b32 v[14:15], v14 offset0:24 offset1:160
	v_div_fixup_f32 v7, v7, v11, v8
	s_waitcnt lgkmcnt(1)
	v_fma_f32 v5, -v4, v12, v5
	v_fma_f32 v5, -v7, v10, v5
	;; [unrolled: 1-line block ×3, first 2 shown]
	v_mul_f32_e64 v4, v4, -v6
	v_cmp_gt_u32_e32 vcc, 32, v0
	s_waitcnt lgkmcnt(0)
	v_fma_f32 v8, -v7, v15, v8
	v_mul_f32_e64 v6, v7, -v14
	; wave barrier
	ds_write2_b32 v1, v4, v5 offset1:68
	ds_write2_b32 v16, v6, v8 offset0:8 offset1:144
	s_waitcnt lgkmcnt(0)
	; wave barrier
	s_and_saveexec_b64 s[0:1], vcc
	s_cbranch_execz .LBB5_2
; %bb.1:
	v_add_u32_e32 v4, 0x220, v1
	v_add_u32_e32 v0, 0x110, v1
	ds_read_b32 v8, v4
	ds_read_b32 v9, v1 offset:128
	ds_read2_b32 v[4:5], v0 offset1:32
	v_add_u32_e32 v6, 0x440, v1
	s_waitcnt lgkmcnt(1)
	v_mul_f32_e32 v0, v8, v9
	s_waitcnt lgkmcnt(0)
	v_fma_f32 v0, v5, v4, -v0
	v_div_scale_f32 v10, s[2:3], v0, v0, 1.0
	v_rcp_f32_e32 v11, v10
	v_div_scale_f32 v12, vcc, 1.0, v0, 1.0
	v_fma_f32 v7, -v10, v11, 1.0
	v_fmac_f32_e32 v11, v7, v11
	v_mul_f32_e32 v13, v12, v11
	v_fma_f32 v7, -v10, v13, v12
	v_fmac_f32_e32 v13, v7, v11
	ds_read2_b32 v[6:7], v6 offset1:32
	v_fma_f32 v10, -v10, v13, v12
	v_div_fmas_f32 v10, v10, v11, v13
	v_div_fixup_f32 v0, v10, v0, 1.0
	s_waitcnt lgkmcnt(0)
	v_mul_f32_e32 v8, v8, v7
	v_fma_f32 v5, v5, v6, -v8
	v_mul_f32_e32 v6, v9, v6
	v_fma_f32 v4, v4, v7, -v6
	v_mul_f32_e32 v5, v0, v5
	v_mul_f32_e32 v0, v0, v4
	ds_write2_b32 v1, v5, v0 offset0:204 offset1:236
.LBB5_2:
	s_or_b64 exec, exec, s[0:1]
	s_waitcnt lgkmcnt(0)
	; wave barrier
	ds_read_b32 v0, v1 offset:816
	s_waitcnt lgkmcnt(0)
	global_store_dword v[2:3], v0, off
	s_endpgm
	.section	.rodata,"a",@progbits
	.p2align	6, 0x0
	.amdhsa_kernel _ZN9rocsparseL49gtsv_nopivot_strided_batch_pcr_pow2_shared_kernelILj64EfEEviiiPKT0_S3_S3_PS1_
		.amdhsa_group_segment_fixed_size 1348
		.amdhsa_private_segment_fixed_size 0
		.amdhsa_kernarg_size 48
		.amdhsa_user_sgpr_count 2
		.amdhsa_user_sgpr_dispatch_ptr 0
		.amdhsa_user_sgpr_queue_ptr 0
		.amdhsa_user_sgpr_kernarg_segment_ptr 1
		.amdhsa_user_sgpr_dispatch_id 0
		.amdhsa_user_sgpr_kernarg_preload_length 0
		.amdhsa_user_sgpr_kernarg_preload_offset 0
		.amdhsa_user_sgpr_private_segment_size 0
		.amdhsa_uses_dynamic_stack 0
		.amdhsa_enable_private_segment 0
		.amdhsa_system_sgpr_workgroup_id_x 1
		.amdhsa_system_sgpr_workgroup_id_y 0
		.amdhsa_system_sgpr_workgroup_id_z 0
		.amdhsa_system_sgpr_workgroup_info 0
		.amdhsa_system_vgpr_workitem_id 0
		.amdhsa_next_free_vgpr 32
		.amdhsa_next_free_sgpr 12
		.amdhsa_accum_offset 32
		.amdhsa_reserve_vcc 1
		.amdhsa_float_round_mode_32 0
		.amdhsa_float_round_mode_16_64 0
		.amdhsa_float_denorm_mode_32 3
		.amdhsa_float_denorm_mode_16_64 3
		.amdhsa_dx10_clamp 1
		.amdhsa_ieee_mode 1
		.amdhsa_fp16_overflow 0
		.amdhsa_tg_split 0
		.amdhsa_exception_fp_ieee_invalid_op 0
		.amdhsa_exception_fp_denorm_src 0
		.amdhsa_exception_fp_ieee_div_zero 0
		.amdhsa_exception_fp_ieee_overflow 0
		.amdhsa_exception_fp_ieee_underflow 0
		.amdhsa_exception_fp_ieee_inexact 0
		.amdhsa_exception_int_div_zero 0
	.end_amdhsa_kernel
	.section	.text._ZN9rocsparseL49gtsv_nopivot_strided_batch_pcr_pow2_shared_kernelILj64EfEEviiiPKT0_S3_S3_PS1_,"axG",@progbits,_ZN9rocsparseL49gtsv_nopivot_strided_batch_pcr_pow2_shared_kernelILj64EfEEviiiPKT0_S3_S3_PS1_,comdat
.Lfunc_end5:
	.size	_ZN9rocsparseL49gtsv_nopivot_strided_batch_pcr_pow2_shared_kernelILj64EfEEviiiPKT0_S3_S3_PS1_, .Lfunc_end5-_ZN9rocsparseL49gtsv_nopivot_strided_batch_pcr_pow2_shared_kernelILj64EfEEviiiPKT0_S3_S3_PS1_
                                        ; -- End function
	.set _ZN9rocsparseL49gtsv_nopivot_strided_batch_pcr_pow2_shared_kernelILj64EfEEviiiPKT0_S3_S3_PS1_.num_vgpr, 32
	.set _ZN9rocsparseL49gtsv_nopivot_strided_batch_pcr_pow2_shared_kernelILj64EfEEviiiPKT0_S3_S3_PS1_.num_agpr, 0
	.set _ZN9rocsparseL49gtsv_nopivot_strided_batch_pcr_pow2_shared_kernelILj64EfEEviiiPKT0_S3_S3_PS1_.numbered_sgpr, 12
	.set _ZN9rocsparseL49gtsv_nopivot_strided_batch_pcr_pow2_shared_kernelILj64EfEEviiiPKT0_S3_S3_PS1_.num_named_barrier, 0
	.set _ZN9rocsparseL49gtsv_nopivot_strided_batch_pcr_pow2_shared_kernelILj64EfEEviiiPKT0_S3_S3_PS1_.private_seg_size, 0
	.set _ZN9rocsparseL49gtsv_nopivot_strided_batch_pcr_pow2_shared_kernelILj64EfEEviiiPKT0_S3_S3_PS1_.uses_vcc, 1
	.set _ZN9rocsparseL49gtsv_nopivot_strided_batch_pcr_pow2_shared_kernelILj64EfEEviiiPKT0_S3_S3_PS1_.uses_flat_scratch, 0
	.set _ZN9rocsparseL49gtsv_nopivot_strided_batch_pcr_pow2_shared_kernelILj64EfEEviiiPKT0_S3_S3_PS1_.has_dyn_sized_stack, 0
	.set _ZN9rocsparseL49gtsv_nopivot_strided_batch_pcr_pow2_shared_kernelILj64EfEEviiiPKT0_S3_S3_PS1_.has_recursion, 0
	.set _ZN9rocsparseL49gtsv_nopivot_strided_batch_pcr_pow2_shared_kernelILj64EfEEviiiPKT0_S3_S3_PS1_.has_indirect_call, 0
	.section	.AMDGPU.csdata,"",@progbits
; Kernel info:
; codeLenInByte = 1948
; TotalNumSgprs: 18
; NumVgprs: 32
; NumAgprs: 0
; TotalNumVgprs: 32
; ScratchSize: 0
; MemoryBound: 0
; FloatMode: 240
; IeeeMode: 1
; LDSByteSize: 1348 bytes/workgroup (compile time only)
; SGPRBlocks: 2
; VGPRBlocks: 3
; NumSGPRsForWavesPerEU: 18
; NumVGPRsForWavesPerEU: 32
; AccumOffset: 32
; Occupancy: 8
; WaveLimiterHint : 0
; COMPUTE_PGM_RSRC2:SCRATCH_EN: 0
; COMPUTE_PGM_RSRC2:USER_SGPR: 2
; COMPUTE_PGM_RSRC2:TRAP_HANDLER: 0
; COMPUTE_PGM_RSRC2:TGID_X_EN: 1
; COMPUTE_PGM_RSRC2:TGID_Y_EN: 0
; COMPUTE_PGM_RSRC2:TGID_Z_EN: 0
; COMPUTE_PGM_RSRC2:TIDIG_COMP_CNT: 0
; COMPUTE_PGM_RSRC3_GFX90A:ACCUM_OFFSET: 7
; COMPUTE_PGM_RSRC3_GFX90A:TG_SPLIT: 0
	.section	.text._ZN9rocsparseL51gtsv_nopivot_strided_batch_crpcr_pow2_shared_kernelILj64ELj64EfEEviiiPKT1_S3_S3_PS1_,"axG",@progbits,_ZN9rocsparseL51gtsv_nopivot_strided_batch_crpcr_pow2_shared_kernelILj64ELj64EfEEviiiPKT1_S3_S3_PS1_,comdat
	.globl	_ZN9rocsparseL51gtsv_nopivot_strided_batch_crpcr_pow2_shared_kernelILj64ELj64EfEEviiiPKT1_S3_S3_PS1_ ; -- Begin function _ZN9rocsparseL51gtsv_nopivot_strided_batch_crpcr_pow2_shared_kernelILj64ELj64EfEEviiiPKT1_S3_S3_PS1_
	.p2align	8
	.type	_ZN9rocsparseL51gtsv_nopivot_strided_batch_crpcr_pow2_shared_kernelILj64ELj64EfEEviiiPKT1_S3_S3_PS1_,@function
_ZN9rocsparseL51gtsv_nopivot_strided_batch_crpcr_pow2_shared_kernelILj64ELj64EfEEviiiPKT1_S3_S3_PS1_: ; @_ZN9rocsparseL51gtsv_nopivot_strided_batch_crpcr_pow2_shared_kernelILj64ELj64EfEEviiiPKT1_S3_S3_PS1_
; %bb.0:
	s_load_dword s3, s[0:1], 0x8
	s_load_dwordx8 s[4:11], s[0:1], 0x10
	v_mov_b32_e32 v5, 0
	v_lshlrev_b32_e32 v1, 2, v0
	v_cmp_gt_u32_e64 s[0:1], 64, v0
	s_waitcnt lgkmcnt(0)
	s_mul_i32 s3, s3, s2
	v_add_u32_e32 v2, s3, v0
	v_ashrrev_i32_e32 v3, 31, v2
	v_add_u32_e32 v4, 64, v2
	v_lshlrev_b64 v[2:3], 2, v[2:3]
	v_lshl_add_u64 v[6:7], s[4:5], 0, v[2:3]
	v_lshlrev_b64 v[4:5], 2, v[4:5]
	v_lshl_add_u64 v[8:9], s[4:5], 0, v[4:5]
	global_load_dword v10, v[6:7], off
	global_load_dword v11, v[8:9], off
	v_lshl_add_u64 v[6:7], s[6:7], 0, v[2:3]
	v_lshl_add_u64 v[8:9], s[6:7], 0, v[4:5]
	global_load_dword v12, v[6:7], off
	global_load_dword v13, v[8:9], off
	v_lshl_add_u64 v[6:7], s[8:9], 0, v[2:3]
	v_lshl_add_u64 v[2:3], s[10:11], 0, v[2:3]
	;; [unrolled: 1-line block ×3, first 2 shown]
	global_load_dword v14, v[6:7], off
	global_load_dword v15, v[8:9], off
	v_lshl_add_u64 v[4:5], s[10:11], 0, v[4:5]
	global_load_dword v6, v[2:3], off
	global_load_dword v7, v[4:5], off
	v_cmp_lt_u32_e32 vcc, 63, v0
	s_waitcnt vmcnt(6)
	ds_write2st64_b32 v1, v10, v11 offset1:1
	s_waitcnt vmcnt(4)
	ds_write2st64_b32 v1, v12, v13 offset0:2 offset1:3
	s_waitcnt vmcnt(2)
	ds_write2st64_b32 v1, v14, v15 offset0:4 offset1:5
	;; [unrolled: 2-line block ×3, first 2 shown]
	s_waitcnt lgkmcnt(0)
	; wave barrier
	s_and_saveexec_b64 s[2:3], vcc
	s_xor_b64 s[2:3], exec, s[2:3]
	s_or_saveexec_b64 s[2:3], s[2:3]
	v_or_b32_e32 v9, 0x200, v1
	v_or_b32_e32 v8, 0x400, v1
	;; [unrolled: 1-line block ×3, first 2 shown]
	v_lshlrev_b32_e32 v6, 1, v0
	s_xor_b64 exec, exec, s[2:3]
	s_cbranch_execz .LBB6_2
; %bb.1:
	v_min_u32_e32 v10, 0x7d, v6
	v_lshlrev_b32_e32 v23, 2, v10
	v_add_u32_e32 v22, v8, v1
	ds_read2_b32 v[10:11], v23 offset0:2 offset1:130
	ds_read_b64 v[12:13], v22
	v_add_u32_e32 v24, v1, v1
	v_add_u32_e32 v25, v7, v1
	ds_read_b64 v[14:15], v25
	v_add_u32_e32 v26, v9, v1
	s_waitcnt lgkmcnt(1)
	v_div_scale_f32 v20, s[4:5], v11, v11, v13
	v_rcp_f32_e32 v21, v20
	ds_read_b64 v[16:17], v24
	ds_read_b64 v[18:19], v26
	v_fma_f32 v27, -v20, v21, 1.0
	v_fmac_f32_e32 v21, v27, v21
	v_div_scale_f32 v27, vcc, v13, v11, v13
	v_mul_f32_e32 v28, v27, v21
	v_fma_f32 v29, -v20, v28, v27
	v_fmac_f32_e32 v28, v29, v21
	v_fma_f32 v20, -v20, v28, v27
	s_waitcnt lgkmcnt(0)
	v_div_scale_f32 v27, s[4:5], v18, v18, v17
	v_rcp_f32_e32 v29, v27
	v_div_fmas_f32 v20, v20, v21, v28
	v_div_fixup_f32 v21, v20, v11, v13
	v_fma_f32 v11, -v27, v29, 1.0
	v_fmac_f32_e32 v29, v11, v29
	v_div_scale_f32 v11, vcc, v17, v18, v17
	v_mul_f32_e32 v13, v11, v29
	v_fma_f32 v20, -v27, v13, v11
	v_fmac_f32_e32 v13, v20, v29
	v_fma_f32 v11, -v27, v13, v11
	v_div_fmas_f32 v11, v11, v29, v13
	v_div_fixup_f32 v20, v11, v18, v17
	v_mov_b32_e32 v13, v10
	v_pk_mul_f32 v[10:11], v[20:21], v[12:13]
	v_add_u32_e32 v12, 8, v23
	ds_read2st64_b32 v[12:13], v12 offset0:4 offset1:8
	v_sub_f32_e32 v10, v19, v10
	v_sub_f32_e32 v10, v10, v11
	ds_write_b32 v26, v10 offset:4
	v_mov_b32_e32 v10, v14
	s_waitcnt lgkmcnt(1)
	v_mov_b32_e32 v11, v13
	v_pk_mul_f32 v[10:11], v[20:21], v[10:11]
	s_nop 0
	v_sub_f32_e32 v10, v15, v10
	v_sub_f32_e32 v10, v10, v11
	ds_write_b32 v25, v10 offset:4
	v_mul_f32_e64 v10, v20, -v16
	ds_write_b32 v24, v10 offset:4
	v_mul_f32_e64 v10, v21, -v12
	ds_write_b32 v22, v10 offset:4
.LBB6_2:
	s_or_b64 exec, exec, s[2:3]
	v_add_u32_e32 v10, v1, v1
	v_add_u32_e32 v9, v9, v1
	;; [unrolled: 1-line block ×4, first 2 shown]
	s_waitcnt lgkmcnt(0)
	; wave barrier
	ds_read_b32 v10, v10 offset:4
	ds_read_b32 v9, v9 offset:4
	;; [unrolled: 1-line block ×4, first 2 shown]
	s_waitcnt lgkmcnt(2)
	ds_write2st64_b32 v1, v10, v9 offset0:10 offset1:11
	s_waitcnt lgkmcnt(1)
	ds_write2st64_b32 v1, v8, v7 offset0:12 offset1:14
	v_sub_u32_e64 v7, v0, 1 clamp
	v_lshlrev_b32_e32 v7, 2, v7
	s_waitcnt lgkmcnt(0)
	; wave barrier
	ds_read2st64_b32 v[8:9], v1 offset0:10 offset1:11
	ds_read2st64_b32 v[10:11], v7 offset0:10 offset1:11
	v_min_u32_e32 v14, 62, v0
	v_lshlrev_b32_e32 v14, 2, v14
	v_add_u32_e32 v20, 4, v14
	ds_read2st64_b32 v[14:15], v20 offset0:10 offset1:11
	s_waitcnt lgkmcnt(1)
	v_div_scale_f32 v16, s[2:3], v11, v11, v8
	v_rcp_f32_e32 v17, v16
	v_div_scale_f32 v18, vcc, v8, v11, v8
	v_fma_f32 v12, -v16, v17, 1.0
	v_fmac_f32_e32 v17, v12, v17
	ds_read2st64_b32 v[12:13], v1 offset0:12 offset1:14
	v_mul_f32_e32 v19, v18, v17
	v_fma_f32 v21, -v16, v19, v18
	v_fmac_f32_e32 v19, v21, v17
	v_fma_f32 v16, -v16, v19, v18
	s_waitcnt lgkmcnt(0)
	v_div_scale_f32 v18, s[2:3], v15, v15, v12
	v_rcp_f32_e32 v21, v18
	v_div_fmas_f32 v16, v16, v17, v19
	v_div_fixup_f32 v8, v16, v11, v8
	v_fma_f32 v11, -v18, v21, 1.0
	v_fmac_f32_e32 v21, v11, v21
	v_div_scale_f32 v11, vcc, v12, v15, v12
	v_mul_f32_e32 v19, v11, v21
	v_fma_f32 v16, -v18, v19, v11
	v_fmac_f32_e32 v19, v16, v21
	v_fma_f32 v11, -v18, v19, v11
	ds_read2st64_b32 v[16:17], v7 offset0:12 offset1:14
	v_div_fmas_f32 v7, v11, v21, v19
	ds_read2st64_b32 v[18:19], v20 offset0:12 offset1:14
	v_div_fixup_f32 v7, v7, v15, v12
	s_waitcnt lgkmcnt(0)
	v_fma_f32 v9, -v8, v16, v9
	v_fma_f32 v11, -v8, v17, v13
	v_fma_f32 v9, -v7, v14, v9
	v_fma_f32 v11, -v7, v19, v11
	v_mul_f32_e64 v8, v8, -v10
	v_mul_f32_e64 v7, v7, -v18
	; wave barrier
	ds_write2st64_b32 v1, v8, v9 offset0:10 offset1:11
	ds_write2st64_b32 v1, v7, v11 offset0:12 offset1:14
	v_sub_u32_e64 v7, v0, 2 clamp
	v_lshlrev_b32_e32 v7, 2, v7
	s_waitcnt lgkmcnt(0)
	; wave barrier
	ds_read2st64_b32 v[8:9], v1 offset0:10 offset1:11
	ds_read2st64_b32 v[10:11], v7 offset0:10 offset1:11
	v_min_u32_e32 v14, 61, v0
	v_lshlrev_b32_e32 v14, 2, v14
	v_add_u32_e32 v20, 8, v14
	ds_read2st64_b32 v[14:15], v20 offset0:10 offset1:11
	s_waitcnt lgkmcnt(1)
	v_div_scale_f32 v16, s[2:3], v11, v11, v8
	v_rcp_f32_e32 v17, v16
	v_div_scale_f32 v18, vcc, v8, v11, v8
	v_fma_f32 v12, -v16, v17, 1.0
	v_fmac_f32_e32 v17, v12, v17
	ds_read2st64_b32 v[12:13], v1 offset0:12 offset1:14
	v_mul_f32_e32 v19, v18, v17
	v_fma_f32 v21, -v16, v19, v18
	v_fmac_f32_e32 v19, v21, v17
	v_fma_f32 v16, -v16, v19, v18
	s_waitcnt lgkmcnt(0)
	v_div_scale_f32 v18, s[2:3], v15, v15, v12
	v_rcp_f32_e32 v21, v18
	v_div_fmas_f32 v16, v16, v17, v19
	v_div_fixup_f32 v8, v16, v11, v8
	v_fma_f32 v11, -v18, v21, 1.0
	v_fmac_f32_e32 v21, v11, v21
	v_div_scale_f32 v11, vcc, v12, v15, v12
	v_mul_f32_e32 v19, v11, v21
	v_fma_f32 v16, -v18, v19, v11
	v_fmac_f32_e32 v19, v16, v21
	v_fma_f32 v11, -v18, v19, v11
	ds_read2st64_b32 v[16:17], v7 offset0:12 offset1:14
	v_div_fmas_f32 v7, v11, v21, v19
	ds_read2st64_b32 v[18:19], v20 offset0:12 offset1:14
	v_div_fixup_f32 v7, v7, v15, v12
	s_waitcnt lgkmcnt(0)
	v_fma_f32 v9, -v8, v16, v9
	v_fma_f32 v11, -v8, v17, v13
	v_fma_f32 v9, -v7, v14, v9
	v_fma_f32 v11, -v7, v19, v11
	v_mul_f32_e64 v8, v8, -v10
	v_mul_f32_e64 v7, v7, -v18
	; wave barrier
	ds_write2st64_b32 v1, v8, v9 offset0:10 offset1:11
	;; [unrolled: 47-line block ×4, first 2 shown]
	ds_write2st64_b32 v1, v7, v11 offset0:12 offset1:14
	v_sub_u32_e64 v7, v0, 16 clamp
	v_lshlrev_b32_e32 v7, 2, v7
	s_waitcnt lgkmcnt(0)
	; wave barrier
	ds_read2st64_b32 v[8:9], v1 offset0:10 offset1:11
	ds_read2st64_b32 v[10:11], v7 offset0:10 offset1:11
	v_min_u32_e32 v14, 47, v0
	v_lshlrev_b32_e32 v14, 2, v14
	v_add_u32_e32 v20, 64, v14
	ds_read2st64_b32 v[14:15], v20 offset0:10 offset1:11
	s_waitcnt lgkmcnt(1)
	v_div_scale_f32 v16, s[2:3], v11, v11, v8
	v_rcp_f32_e32 v17, v16
	v_div_scale_f32 v18, vcc, v8, v11, v8
	v_fma_f32 v12, -v16, v17, 1.0
	v_fmac_f32_e32 v17, v12, v17
	ds_read2st64_b32 v[12:13], v1 offset0:12 offset1:14
	v_mul_f32_e32 v19, v18, v17
	v_fma_f32 v21, -v16, v19, v18
	v_fmac_f32_e32 v19, v21, v17
	v_fma_f32 v16, -v16, v19, v18
	s_waitcnt lgkmcnt(0)
	v_div_scale_f32 v18, s[2:3], v15, v15, v12
	v_rcp_f32_e32 v21, v18
	v_div_fmas_f32 v16, v16, v17, v19
	v_div_fixup_f32 v8, v16, v11, v8
	v_fma_f32 v11, -v18, v21, 1.0
	v_fmac_f32_e32 v21, v11, v21
	v_div_scale_f32 v11, vcc, v12, v15, v12
	v_mul_f32_e32 v19, v11, v21
	v_fma_f32 v16, -v18, v19, v11
	v_fmac_f32_e32 v19, v16, v21
	ds_read2st64_b32 v[16:17], v7 offset0:12 offset1:14
	v_fma_f32 v11, -v18, v19, v11
	v_div_fmas_f32 v7, v11, v21, v19
	ds_read2st64_b32 v[18:19], v20 offset0:12 offset1:14
	v_div_fixup_f32 v7, v7, v15, v12
	s_waitcnt lgkmcnt(1)
	v_fma_f32 v9, -v8, v16, v9
	v_fma_f32 v9, -v7, v14, v9
	;; [unrolled: 1-line block ×3, first 2 shown]
	v_mul_f32_e64 v8, v8, -v10
	v_cmp_gt_u32_e32 vcc, 32, v0
	s_waitcnt lgkmcnt(0)
	v_fma_f32 v11, -v7, v19, v11
	v_mul_f32_e64 v7, v7, -v18
	; wave barrier
	ds_write2st64_b32 v1, v8, v9 offset0:10 offset1:11
	ds_write2st64_b32 v1, v7, v11 offset0:12 offset1:14
	s_waitcnt lgkmcnt(0)
	; wave barrier
	s_and_saveexec_b64 s[2:3], vcc
	s_cbranch_execz .LBB6_4
; %bb.3:
	v_or_b32_e32 v7, 0xa00, v1
	v_or_b32_e32 v8, 0xb00, v1
	;; [unrolled: 1-line block ×3, first 2 shown]
	ds_read_b32 v12, v9
	ds_read_b32 v7, v7 offset:128
	ds_read2_b32 v[8:9], v8 offset1:32
	s_waitcnt lgkmcnt(1)
	v_mul_f32_e32 v10, v12, v7
	s_waitcnt lgkmcnt(0)
	v_fma_f32 v13, v9, v8, -v10
	v_div_scale_f32 v14, s[4:5], v13, v13, 1.0
	v_rcp_f32_e32 v15, v14
	v_div_scale_f32 v16, vcc, 1.0, v13, 1.0
	v_or_b32_e32 v10, 0xe00, v1
	v_fma_f32 v11, -v14, v15, 1.0
	v_fmac_f32_e32 v15, v11, v15
	v_mul_f32_e32 v17, v16, v15
	v_fma_f32 v11, -v14, v17, v16
	v_fmac_f32_e32 v17, v11, v15
	ds_read2_b32 v[10:11], v10 offset1:32
	v_fma_f32 v14, -v14, v17, v16
	v_div_fmas_f32 v14, v14, v15, v17
	v_div_fixup_f32 v13, v14, v13, 1.0
	s_waitcnt lgkmcnt(0)
	v_mul_f32_e32 v12, v12, v11
	v_mul_f32_e32 v7, v7, v10
	v_fma_f32 v9, v9, v10, -v12
	v_fma_f32 v7, v8, v11, -v7
	v_mul_f32_e32 v9, v13, v9
	v_mul_f32_e32 v7, v13, v7
	v_add_u32_e32 v8, 0xc00, v1
	ds_write2_b32 v8, v9, v7 offset0:64 offset1:96
.LBB6_4:
	s_or_b64 exec, exec, s[2:3]
	s_waitcnt lgkmcnt(0)
	; wave barrier
	ds_read_b32 v8, v1 offset:3328
	v_lshlrev_b32_e32 v9, 3, v0
	v_or_b32_e32 v7, 0x600, v9
	s_waitcnt lgkmcnt(0)
	ds_write_b32 v9, v8 offset:1540
	s_waitcnt lgkmcnt(0)
	; wave barrier
	s_and_saveexec_b64 s[2:3], s[0:1]
	s_cbranch_execz .LBB6_9
; %bb.5:
	v_lshlrev_b32_e32 v8, 2, v6
	ds_read_b32 v6, v8 offset:2048
	v_cmp_ne_u32_e32 vcc, 0, v0
	s_and_saveexec_b64 s[0:1], vcc
	s_xor_b64 s[0:1], exec, s[0:1]
	s_cbranch_execz .LBB6_7
; %bb.6:
	ds_read2st64_b32 v[10:11], v8 offset1:2
	v_add_u32_e32 v0, -4, v7
	ds_read_b32 v12, v0
	ds_read_b32 v9, v8 offset:1024
	ds_read_b32 v13, v7 offset:4
	s_waitcnt lgkmcnt(3)
	v_mov_b32_e32 v8, v10
	s_waitcnt lgkmcnt(0)
	v_pk_mul_f32 v[8:9], v[8:9], v[12:13]
	s_nop 0
	v_sub_f32_e32 v0, v6, v8
	v_sub_f32_e32 v0, v0, v9
	v_div_scale_f32 v6, s[4:5], v11, v11, v0
	v_rcp_f32_e32 v8, v6
	v_div_scale_f32 v9, vcc, v0, v11, v0
	v_fma_f32 v10, -v6, v8, 1.0
	v_fmac_f32_e32 v8, v10, v8
	v_mul_f32_e32 v10, v9, v8
	v_fma_f32 v12, -v6, v10, v9
	v_fmac_f32_e32 v10, v12, v8
	v_fma_f32 v6, -v6, v10, v9
	v_div_fmas_f32 v6, v6, v8, v10
	v_div_fixup_f32 v0, v6, v11, v0
	ds_write_b32 v7, v0
                                        ; implicit-def: $vgpr8
                                        ; implicit-def: $vgpr6
.LBB6_7:
	s_andn2_saveexec_b64 s[0:1], s[0:1]
	s_cbranch_execz .LBB6_9
; %bb.8:
	ds_read2st64_b32 v[8:9], v8 offset0:2 offset1:4
	ds_read_b32 v0, v7 offset:4
	s_waitcnt lgkmcnt(0)
	v_fma_f32 v0, -v9, v0, v6
	v_div_scale_f32 v6, s[0:1], v8, v8, v0
	v_rcp_f32_e32 v9, v6
	v_div_scale_f32 v10, vcc, v0, v8, v0
	v_fma_f32 v11, -v6, v9, 1.0
	v_fmac_f32_e32 v9, v11, v9
	v_mul_f32_e32 v11, v10, v9
	v_fma_f32 v12, -v6, v11, v10
	v_fmac_f32_e32 v11, v12, v9
	v_fma_f32 v6, -v6, v11, v10
	v_div_fmas_f32 v6, v6, v9, v11
	v_div_fixup_f32 v0, v6, v8, v0
	ds_write_b32 v7, v0
.LBB6_9:
	s_or_b64 exec, exec, s[2:3]
	v_sub_u32_e32 v0, v7, v1
	s_waitcnt lgkmcnt(0)
	; wave barrier
	ds_read2st64_b32 v[0:1], v0 offset1:1
	s_waitcnt lgkmcnt(0)
	global_store_dword v[2:3], v0, off
	global_store_dword v[4:5], v1, off
	s_endpgm
	.section	.rodata,"a",@progbits
	.p2align	6, 0x0
	.amdhsa_kernel _ZN9rocsparseL51gtsv_nopivot_strided_batch_crpcr_pow2_shared_kernelILj64ELj64EfEEviiiPKT1_S3_S3_PS1_
		.amdhsa_group_segment_fixed_size 3840
		.amdhsa_private_segment_fixed_size 0
		.amdhsa_kernarg_size 48
		.amdhsa_user_sgpr_count 2
		.amdhsa_user_sgpr_dispatch_ptr 0
		.amdhsa_user_sgpr_queue_ptr 0
		.amdhsa_user_sgpr_kernarg_segment_ptr 1
		.amdhsa_user_sgpr_dispatch_id 0
		.amdhsa_user_sgpr_kernarg_preload_length 0
		.amdhsa_user_sgpr_kernarg_preload_offset 0
		.amdhsa_user_sgpr_private_segment_size 0
		.amdhsa_uses_dynamic_stack 0
		.amdhsa_enable_private_segment 0
		.amdhsa_system_sgpr_workgroup_id_x 1
		.amdhsa_system_sgpr_workgroup_id_y 0
		.amdhsa_system_sgpr_workgroup_id_z 0
		.amdhsa_system_sgpr_workgroup_info 0
		.amdhsa_system_vgpr_workitem_id 0
		.amdhsa_next_free_vgpr 30
		.amdhsa_next_free_sgpr 12
		.amdhsa_accum_offset 32
		.amdhsa_reserve_vcc 1
		.amdhsa_float_round_mode_32 0
		.amdhsa_float_round_mode_16_64 0
		.amdhsa_float_denorm_mode_32 3
		.amdhsa_float_denorm_mode_16_64 3
		.amdhsa_dx10_clamp 1
		.amdhsa_ieee_mode 1
		.amdhsa_fp16_overflow 0
		.amdhsa_tg_split 0
		.amdhsa_exception_fp_ieee_invalid_op 0
		.amdhsa_exception_fp_denorm_src 0
		.amdhsa_exception_fp_ieee_div_zero 0
		.amdhsa_exception_fp_ieee_overflow 0
		.amdhsa_exception_fp_ieee_underflow 0
		.amdhsa_exception_fp_ieee_inexact 0
		.amdhsa_exception_int_div_zero 0
	.end_amdhsa_kernel
	.section	.text._ZN9rocsparseL51gtsv_nopivot_strided_batch_crpcr_pow2_shared_kernelILj64ELj64EfEEviiiPKT1_S3_S3_PS1_,"axG",@progbits,_ZN9rocsparseL51gtsv_nopivot_strided_batch_crpcr_pow2_shared_kernelILj64ELj64EfEEviiiPKT1_S3_S3_PS1_,comdat
.Lfunc_end6:
	.size	_ZN9rocsparseL51gtsv_nopivot_strided_batch_crpcr_pow2_shared_kernelILj64ELj64EfEEviiiPKT1_S3_S3_PS1_, .Lfunc_end6-_ZN9rocsparseL51gtsv_nopivot_strided_batch_crpcr_pow2_shared_kernelILj64ELj64EfEEviiiPKT1_S3_S3_PS1_
                                        ; -- End function
	.set _ZN9rocsparseL51gtsv_nopivot_strided_batch_crpcr_pow2_shared_kernelILj64ELj64EfEEviiiPKT1_S3_S3_PS1_.num_vgpr, 30
	.set _ZN9rocsparseL51gtsv_nopivot_strided_batch_crpcr_pow2_shared_kernelILj64ELj64EfEEviiiPKT1_S3_S3_PS1_.num_agpr, 0
	.set _ZN9rocsparseL51gtsv_nopivot_strided_batch_crpcr_pow2_shared_kernelILj64ELj64EfEEviiiPKT1_S3_S3_PS1_.numbered_sgpr, 12
	.set _ZN9rocsparseL51gtsv_nopivot_strided_batch_crpcr_pow2_shared_kernelILj64ELj64EfEEviiiPKT1_S3_S3_PS1_.num_named_barrier, 0
	.set _ZN9rocsparseL51gtsv_nopivot_strided_batch_crpcr_pow2_shared_kernelILj64ELj64EfEEviiiPKT1_S3_S3_PS1_.private_seg_size, 0
	.set _ZN9rocsparseL51gtsv_nopivot_strided_batch_crpcr_pow2_shared_kernelILj64ELj64EfEEviiiPKT1_S3_S3_PS1_.uses_vcc, 1
	.set _ZN9rocsparseL51gtsv_nopivot_strided_batch_crpcr_pow2_shared_kernelILj64ELj64EfEEviiiPKT1_S3_S3_PS1_.uses_flat_scratch, 0
	.set _ZN9rocsparseL51gtsv_nopivot_strided_batch_crpcr_pow2_shared_kernelILj64ELj64EfEEviiiPKT1_S3_S3_PS1_.has_dyn_sized_stack, 0
	.set _ZN9rocsparseL51gtsv_nopivot_strided_batch_crpcr_pow2_shared_kernelILj64ELj64EfEEviiiPKT1_S3_S3_PS1_.has_recursion, 0
	.set _ZN9rocsparseL51gtsv_nopivot_strided_batch_crpcr_pow2_shared_kernelILj64ELj64EfEEviiiPKT1_S3_S3_PS1_.has_indirect_call, 0
	.section	.AMDGPU.csdata,"",@progbits
; Kernel info:
; codeLenInByte = 2808
; TotalNumSgprs: 18
; NumVgprs: 30
; NumAgprs: 0
; TotalNumVgprs: 30
; ScratchSize: 0
; MemoryBound: 0
; FloatMode: 240
; IeeeMode: 1
; LDSByteSize: 3840 bytes/workgroup (compile time only)
; SGPRBlocks: 2
; VGPRBlocks: 3
; NumSGPRsForWavesPerEU: 18
; NumVGPRsForWavesPerEU: 30
; AccumOffset: 32
; Occupancy: 8
; WaveLimiterHint : 0
; COMPUTE_PGM_RSRC2:SCRATCH_EN: 0
; COMPUTE_PGM_RSRC2:USER_SGPR: 2
; COMPUTE_PGM_RSRC2:TRAP_HANDLER: 0
; COMPUTE_PGM_RSRC2:TGID_X_EN: 1
; COMPUTE_PGM_RSRC2:TGID_Y_EN: 0
; COMPUTE_PGM_RSRC2:TGID_Z_EN: 0
; COMPUTE_PGM_RSRC2:TIDIG_COMP_CNT: 0
; COMPUTE_PGM_RSRC3_GFX90A:ACCUM_OFFSET: 7
; COMPUTE_PGM_RSRC3_GFX90A:TG_SPLIT: 0
	.section	.text._ZN9rocsparseL51gtsv_nopivot_strided_batch_crpcr_pow2_shared_kernelILj128ELj64EfEEviiiPKT1_S3_S3_PS1_,"axG",@progbits,_ZN9rocsparseL51gtsv_nopivot_strided_batch_crpcr_pow2_shared_kernelILj128ELj64EfEEviiiPKT1_S3_S3_PS1_,comdat
	.globl	_ZN9rocsparseL51gtsv_nopivot_strided_batch_crpcr_pow2_shared_kernelILj128ELj64EfEEviiiPKT1_S3_S3_PS1_ ; -- Begin function _ZN9rocsparseL51gtsv_nopivot_strided_batch_crpcr_pow2_shared_kernelILj128ELj64EfEEviiiPKT1_S3_S3_PS1_
	.p2align	8
	.type	_ZN9rocsparseL51gtsv_nopivot_strided_batch_crpcr_pow2_shared_kernelILj128ELj64EfEEviiiPKT1_S3_S3_PS1_,@function
_ZN9rocsparseL51gtsv_nopivot_strided_batch_crpcr_pow2_shared_kernelILj128ELj64EfEEviiiPKT1_S3_S3_PS1_: ; @_ZN9rocsparseL51gtsv_nopivot_strided_batch_crpcr_pow2_shared_kernelILj128ELj64EfEEviiiPKT1_S3_S3_PS1_
; %bb.0:
	s_load_dword s3, s[0:1], 0x8
	s_load_dwordx8 s[4:11], s[0:1], 0x10
	v_mov_b32_e32 v5, 0
	s_movk_i32 s0, 0x80
	v_lshlrev_b32_e32 v1, 2, v0
	s_waitcnt lgkmcnt(0)
	s_mul_i32 s3, s3, s2
	v_add_u32_e32 v2, s3, v0
	v_ashrrev_i32_e32 v3, 31, v2
	v_add_u32_e32 v4, 0x80, v2
	v_lshlrev_b64 v[2:3], 2, v[2:3]
	v_lshl_add_u64 v[6:7], s[4:5], 0, v[2:3]
	v_lshlrev_b64 v[4:5], 2, v[4:5]
	v_lshl_add_u64 v[8:9], s[4:5], 0, v[4:5]
	global_load_dword v10, v[6:7], off
	global_load_dword v11, v[8:9], off
	v_lshl_add_u64 v[6:7], s[6:7], 0, v[2:3]
	v_lshl_add_u64 v[8:9], s[6:7], 0, v[4:5]
	global_load_dword v12, v[6:7], off
	global_load_dword v13, v[8:9], off
	v_lshl_add_u64 v[6:7], s[8:9], 0, v[2:3]
	v_lshl_add_u64 v[2:3], s[10:11], 0, v[2:3]
	;; [unrolled: 1-line block ×3, first 2 shown]
	global_load_dword v14, v[6:7], off
	global_load_dword v16, v[8:9], off
	v_lshl_add_u64 v[4:5], s[10:11], 0, v[4:5]
	global_load_dword v6, v[2:3], off
	global_load_dword v7, v[4:5], off
	v_add_u32_e32 v15, 1, v0
	v_cmp_gt_u32_e64 s[0:1], s0, v0
	s_waitcnt vmcnt(6)
	ds_write2st64_b32 v1, v10, v11 offset1:2
	s_waitcnt vmcnt(4)
	ds_write2st64_b32 v1, v12, v13 offset0:4 offset1:6
	s_waitcnt vmcnt(2)
	ds_write2st64_b32 v1, v14, v16 offset0:8 offset1:10
	;; [unrolled: 2-line block ×3, first 2 shown]
	s_waitcnt lgkmcnt(0)
	s_barrier
	s_and_saveexec_b64 s[2:3], s[0:1]
	s_cbranch_execz .LBB7_2
; %bb.1:
	v_lshlrev_b32_e32 v6, 1, v15
	v_min_u32_e32 v10, 0xff, v6
	v_lshlrev_b32_e32 v14, 3, v15
	v_lshlrev_b32_e32 v20, 2, v10
	ds_read2_b64 v[6:9], v14 offset0:127 offset1:255
	ds_read2st64_b32 v[10:11], v20 offset1:4
	v_add_u32_e32 v12, -8, v14
	ds_read_b64 v[12:13], v12
	v_add_u32_e32 v21, -4, v14
	s_waitcnt lgkmcnt(1)
	v_div_scale_f32 v16, s[4:5], v11, v11, v9
	v_rcp_f32_e32 v18, v16
	s_nop 0
	v_fma_f32 v17, -v16, v18, 1.0
	v_fmac_f32_e32 v18, v17, v18
	v_div_scale_f32 v17, vcc, v9, v11, v9
	v_mul_f32_e32 v19, v17, v18
	v_fma_f32 v22, -v16, v19, v17
	v_fmac_f32_e32 v19, v22, v18
	v_fma_f32 v22, -v16, v19, v17
	ds_read_b64 v[16:17], v14 offset:4088
	s_waitcnt lgkmcnt(1)
	v_div_scale_f32 v23, s[4:5], v6, v6, v13
	v_rcp_f32_e32 v24, v23
	v_div_fmas_f32 v18, v22, v18, v19
	v_div_fixup_f32 v19, v18, v11, v9
	v_fma_f32 v9, -v23, v24, 1.0
	v_fmac_f32_e32 v24, v9, v24
	v_div_scale_f32 v9, vcc, v13, v6, v13
	v_mul_f32_e32 v11, v9, v24
	v_fma_f32 v18, -v23, v11, v9
	v_fmac_f32_e32 v11, v18, v24
	v_fma_f32 v9, -v23, v11, v9
	v_div_fmas_f32 v9, v9, v24, v11
	v_div_fixup_f32 v18, v9, v6, v13
	v_mov_b32_e32 v9, v10
	ds_read2st64_b32 v[10:11], v20 offset0:8 offset1:16
	v_pk_mul_f32 v[8:9], v[18:19], v[8:9]
	s_nop 0
	v_sub_f32_e32 v6, v7, v8
	v_sub_f32_e32 v8, v6, v9
	s_waitcnt lgkmcnt(1)
	v_mov_b32_e32 v6, v16
	s_waitcnt lgkmcnt(0)
	v_mov_b32_e32 v7, v11
	v_pk_mul_f32 v[6:7], v[18:19], v[6:7]
	s_nop 0
	v_sub_f32_e32 v6, v17, v6
	v_sub_f32_e32 v6, v6, v7
	ds_write_b32 v14, v6 offset:4092
	v_mul_f32_e64 v6, v18, -v12
	ds_write_b32 v21, v6
	v_mul_f32_e64 v6, v19, -v10
	v_add_u32_e32 v7, 0xfc, v14
	ds_write2st64_b32 v7, v8, v6 offset0:3 offset1:7
.LBB7_2:
	s_or_b64 exec, exec, s[2:3]
	v_cmp_gt_u32_e64 s[2:3], 64, v0
	v_lshlrev_b32_e32 v10, 4, v15
	s_waitcnt lgkmcnt(0)
	s_barrier
	s_and_saveexec_b64 s[4:5], s[2:3]
	s_cbranch_execz .LBB7_4
; %bb.3:
	v_lshl_or_b32 v6, v15, 2, 1
	v_add_u32_e32 v14, -4, v10
	v_min_u32_e32 v11, 0xff, v6
	ds_read_b32 v16, v14
	ds_read2_b32 v[6:7], v10 offset0:253 offset1:255
	v_add_u32_e32 v8, -12, v10
	v_add_u32_e32 v9, 0x400, v10
	v_lshlrev_b32_e32 v11, 2, v11
	ds_read_b32 v20, v8
	s_waitcnt lgkmcnt(1)
	v_div_scale_f32 v17, s[6:7], v6, v6, v16
	v_rcp_f32_e32 v18, v17
	ds_read2_b32 v[8:9], v9 offset0:253 offset1:255
	ds_read2st64_b32 v[12:13], v11 offset1:4
	v_fma_f32 v19, -v17, v18, 1.0
	v_fmac_f32_e32 v18, v19, v18
	v_div_scale_f32 v19, vcc, v16, v6, v16
	v_mul_f32_e32 v21, v19, v18
	v_fma_f32 v22, -v17, v21, v19
	v_fmac_f32_e32 v21, v22, v18
	v_fma_f32 v17, -v17, v21, v19
	s_waitcnt lgkmcnt(0)
	v_div_scale_f32 v19, s[6:7], v13, v13, v9
	v_rcp_f32_e32 v22, v19
	v_div_fmas_f32 v17, v17, v18, v21
	v_div_fixup_f32 v16, v17, v6, v16
	v_fma_f32 v6, -v19, v22, 1.0
	v_fmac_f32_e32 v22, v6, v22
	v_div_scale_f32 v6, vcc, v9, v13, v9
	v_mul_f32_e32 v17, v6, v22
	v_fma_f32 v18, -v19, v17, v6
	v_fmac_f32_e32 v17, v18, v22
	v_fma_f32 v6, -v19, v17, v6
	v_div_fmas_f32 v6, v6, v22, v17
	v_div_fixup_f32 v17, v6, v13, v9
	v_add_u32_e32 v6, 0xc00, v10
	v_mov_b32_e32 v9, v12
	ds_read2_b32 v[12:13], v6 offset0:253 offset1:255
	ds_read2st64_b32 v[18:19], v11 offset0:8 offset1:16
	v_pk_mul_f32 v[8:9], v[16:17], v[8:9]
	s_nop 0
	v_sub_f32_e32 v6, v7, v8
	v_sub_f32_e32 v8, v6, v9
	s_waitcnt lgkmcnt(1)
	v_mov_b32_e32 v6, v12
	s_waitcnt lgkmcnt(0)
	v_mov_b32_e32 v7, v19
	v_pk_mul_f32 v[6:7], v[16:17], v[6:7]
	s_nop 0
	v_sub_f32_e32 v6, v13, v6
	v_sub_f32_e32 v6, v6, v7
	ds_write_b32 v10, v6 offset:4092
	v_mul_f32_e64 v6, v16, -v20
	ds_write_b32 v14, v6
	v_mul_f32_e64 v6, v17, -v18
	v_add_u32_e32 v7, 0xfc, v10
	ds_write2st64_b32 v7, v8, v6 offset0:3 offset1:7
.LBB7_4:
	s_or_b64 exec, exec, s[4:5]
	s_waitcnt lgkmcnt(0)
	s_barrier
	s_and_saveexec_b64 s[4:5], s[2:3]
	s_cbranch_execz .LBB7_6
; %bb.5:
	v_add_u32_e32 v8, -4, v10
	v_add_u32_e32 v6, 0xfc, v10
	ds_read2st64_b32 v[6:7], v6 offset0:3 offset1:7
	ds_read_b32 v8, v8
	ds_read_b32 v9, v10 offset:4092
	s_waitcnt lgkmcnt(1)
	ds_write2st64_b32 v1, v8, v6 offset0:20 offset1:21
	s_waitcnt lgkmcnt(1)
	ds_write2st64_b32 v1, v7, v9 offset0:22 offset1:24
.LBB7_6:
	s_or_b64 exec, exec, s[4:5]
	v_or_b32_e32 v12, 0x1400, v1
	v_or_b32_e32 v14, 0x1600, v1
	v_add_u32_e32 v13, 0x1500, v1
	v_or_b32_e32 v11, 0x1800, v1
	s_waitcnt lgkmcnt(0)
	s_barrier
                                        ; implicit-def: $vgpr6_vgpr7
                                        ; implicit-def: $vgpr8_vgpr9
	s_and_saveexec_b64 s[4:5], s[2:3]
	s_cbranch_execz .LBB7_8
; %bb.7:
	v_sub_u32_e64 v7, v0, 1 clamp
	v_min_u32_e32 v6, 63, v15
	v_lshlrev_b32_e32 v15, 2, v7
	ds_read2st64_b32 v[8:9], v15 offset0:20 offset1:21
	v_lshlrev_b32_e32 v18, 2, v6
	ds_read2st64_b32 v[6:7], v18 offset0:20 offset1:21
	ds_read2st64_b32 v[22:23], v15 offset0:22 offset1:24
	ds_read_b32 v15, v12
	ds_read_b32 v24, v14
	;; [unrolled: 1-line block ×4, first 2 shown]
	ds_read2st64_b32 v[18:19], v18 offset0:22 offset1:24
	s_waitcnt lgkmcnt(5)
	v_mov_b32_e32 v20, v23
	v_mov_b32_e32 v23, v6
	s_waitcnt lgkmcnt(4)
	v_div_scale_f32 v25, s[6:7], v9, v9, v15
	v_rcp_f32_e32 v26, v25
	v_mov_b32_e32 v21, v22
	s_waitcnt lgkmcnt(0)
	v_mov_b32_e32 v22, v19
	v_fma_f32 v6, -v25, v26, 1.0
	v_fmac_f32_e32 v26, v6, v26
	v_div_scale_f32 v6, vcc, v15, v9, v15
	v_mul_f32_e32 v19, v6, v26
	v_fma_f32 v27, -v25, v19, v6
	v_fmac_f32_e32 v19, v27, v26
	v_div_scale_f32 v27, s[6:7], v7, v7, v24
	v_rcp_f32_e32 v28, v27
	v_fma_f32 v6, -v25, v19, v6
	v_div_fmas_f32 v6, v6, v26, v19
	v_div_fixup_f32 v25, v6, v9, v15
	v_fma_f32 v6, -v27, v28, 1.0
	v_fmac_f32_e32 v28, v6, v28
	v_div_scale_f32 v6, vcc, v24, v7, v24
	v_mul_f32_e32 v9, v6, v28
	v_fma_f32 v15, -v27, v9, v6
	v_fmac_f32_e32 v9, v15, v28
	v_fma_f32 v6, -v27, v9, v6
	v_div_fmas_f32 v6, v6, v28, v9
	v_div_fixup_f32 v24, v6, v7, v24
	v_mov_b32_e32 v6, v25
	v_pk_fma_f32 v[6:7], v[6:7], v[20:21], v[16:17] op_sel_hi:[0,1,1] neg_lo:[1,0,0] neg_hi:[1,0,0]
	v_mov_b32_e32 v19, v8
	v_pk_fma_f32 v[6:7], v[24:25], v[22:23], v[6:7] op_sel_hi:[0,1,1] neg_lo:[1,0,0] neg_hi:[1,0,0]
	v_pk_mul_f32 v[8:9], v[24:25], v[18:19] neg_lo:[0,1] neg_hi:[0,1]
.LBB7_8:
	s_or_b64 exec, exec, s[4:5]
	s_barrier
	s_and_saveexec_b64 s[4:5], s[2:3]
	s_cbranch_execz .LBB7_10
; %bb.9:
	ds_write_b32 v13, v7
	ds_write_b32 v11, v6
	ds_write_b32 v12, v9
	ds_write_b32 v14, v8
.LBB7_10:
	s_or_b64 exec, exec, s[4:5]
	s_waitcnt lgkmcnt(0)
	s_barrier
	s_and_saveexec_b64 s[4:5], s[2:3]
	s_cbranch_execz .LBB7_12
; %bb.11:
	v_sub_u32_e64 v7, v0, 2 clamp
	v_lshlrev_b32_e32 v15, 2, v7
	ds_read2st64_b32 v[8:9], v15 offset0:20 offset1:21
	v_min_u32_e32 v6, 61, v0
	v_lshlrev_b32_e32 v6, 2, v6
	v_add_u32_e32 v18, 8, v6
	ds_read2st64_b32 v[6:7], v18 offset0:20 offset1:21
	ds_read2st64_b32 v[22:23], v15 offset0:22 offset1:24
	ds_read_b32 v15, v12
	ds_read_b32 v24, v14
	ds_read_b32 v17, v13
	ds_read_b32 v16, v11
	ds_read2st64_b32 v[18:19], v18 offset0:22 offset1:24
	s_waitcnt lgkmcnt(4)
	v_div_scale_f32 v25, s[6:7], v9, v9, v15
	v_rcp_f32_e32 v26, v25
	v_mov_b32_e32 v20, v23
	v_mov_b32_e32 v23, v6
	v_mov_b32_e32 v21, v22
	v_fma_f32 v6, -v25, v26, 1.0
	v_fmac_f32_e32 v26, v6, v26
	v_div_scale_f32 v6, vcc, v15, v9, v15
	s_waitcnt lgkmcnt(0)
	v_mov_b32_e32 v22, v19
	v_mul_f32_e32 v19, v6, v26
	v_fma_f32 v27, -v25, v19, v6
	v_fmac_f32_e32 v19, v27, v26
	v_div_scale_f32 v27, s[6:7], v7, v7, v24
	v_rcp_f32_e32 v28, v27
	v_fma_f32 v6, -v25, v19, v6
	v_div_fmas_f32 v6, v6, v26, v19
	v_div_fixup_f32 v25, v6, v9, v15
	v_fma_f32 v6, -v27, v28, 1.0
	v_fmac_f32_e32 v28, v6, v28
	v_div_scale_f32 v6, vcc, v24, v7, v24
	v_mul_f32_e32 v9, v6, v28
	v_fma_f32 v15, -v27, v9, v6
	v_fmac_f32_e32 v9, v15, v28
	v_fma_f32 v6, -v27, v9, v6
	v_div_fmas_f32 v6, v6, v28, v9
	v_div_fixup_f32 v24, v6, v7, v24
	v_mov_b32_e32 v6, v25
	v_pk_fma_f32 v[6:7], v[6:7], v[20:21], v[16:17] op_sel_hi:[0,1,1] neg_lo:[1,0,0] neg_hi:[1,0,0]
	v_mov_b32_e32 v19, v8
	v_pk_fma_f32 v[6:7], v[24:25], v[22:23], v[6:7] op_sel_hi:[0,1,1] neg_lo:[1,0,0] neg_hi:[1,0,0]
	v_pk_mul_f32 v[8:9], v[24:25], v[18:19] neg_lo:[0,1] neg_hi:[0,1]
.LBB7_12:
	s_or_b64 exec, exec, s[4:5]
	s_barrier
	s_and_saveexec_b64 s[4:5], s[2:3]
	s_cbranch_execz .LBB7_14
; %bb.13:
	ds_write_b32 v13, v7
	ds_write_b32 v11, v6
	ds_write_b32 v12, v9
	ds_write_b32 v14, v8
.LBB7_14:
	s_or_b64 exec, exec, s[4:5]
	s_waitcnt lgkmcnt(0)
	s_barrier
	s_and_saveexec_b64 s[4:5], s[2:3]
	s_cbranch_execz .LBB7_16
; %bb.15:
	v_sub_u32_e64 v7, v0, 4 clamp
	v_lshlrev_b32_e32 v15, 2, v7
	ds_read2st64_b32 v[8:9], v15 offset0:20 offset1:21
	v_min_u32_e32 v6, 59, v0
	v_lshlrev_b32_e32 v6, 2, v6
	v_add_u32_e32 v18, 16, v6
	ds_read2st64_b32 v[6:7], v18 offset0:20 offset1:21
	ds_read2st64_b32 v[22:23], v15 offset0:22 offset1:24
	ds_read_b32 v15, v12
	ds_read_b32 v24, v14
	ds_read_b32 v17, v13
	ds_read_b32 v16, v11
	ds_read2st64_b32 v[18:19], v18 offset0:22 offset1:24
	s_waitcnt lgkmcnt(4)
	v_div_scale_f32 v25, s[6:7], v9, v9, v15
	v_rcp_f32_e32 v26, v25
	v_mov_b32_e32 v20, v23
	v_mov_b32_e32 v23, v6
	v_mov_b32_e32 v21, v22
	v_fma_f32 v6, -v25, v26, 1.0
	v_fmac_f32_e32 v26, v6, v26
	v_div_scale_f32 v6, vcc, v15, v9, v15
	s_waitcnt lgkmcnt(0)
	v_mov_b32_e32 v22, v19
	v_mul_f32_e32 v19, v6, v26
	v_fma_f32 v27, -v25, v19, v6
	v_fmac_f32_e32 v19, v27, v26
	v_div_scale_f32 v27, s[6:7], v7, v7, v24
	v_rcp_f32_e32 v28, v27
	v_fma_f32 v6, -v25, v19, v6
	v_div_fmas_f32 v6, v6, v26, v19
	v_div_fixup_f32 v25, v6, v9, v15
	v_fma_f32 v6, -v27, v28, 1.0
	v_fmac_f32_e32 v28, v6, v28
	v_div_scale_f32 v6, vcc, v24, v7, v24
	v_mul_f32_e32 v9, v6, v28
	v_fma_f32 v15, -v27, v9, v6
	v_fmac_f32_e32 v9, v15, v28
	v_fma_f32 v6, -v27, v9, v6
	v_div_fmas_f32 v6, v6, v28, v9
	v_div_fixup_f32 v24, v6, v7, v24
	v_mov_b32_e32 v6, v25
	v_pk_fma_f32 v[6:7], v[6:7], v[20:21], v[16:17] op_sel_hi:[0,1,1] neg_lo:[1,0,0] neg_hi:[1,0,0]
	v_mov_b32_e32 v19, v8
	v_pk_fma_f32 v[6:7], v[24:25], v[22:23], v[6:7] op_sel_hi:[0,1,1] neg_lo:[1,0,0] neg_hi:[1,0,0]
	v_pk_mul_f32 v[8:9], v[24:25], v[18:19] neg_lo:[0,1] neg_hi:[0,1]
.LBB7_16:
	;; [unrolled: 63-line block ×4, first 2 shown]
	s_or_b64 exec, exec, s[4:5]
	s_barrier
	s_and_saveexec_b64 s[4:5], s[2:3]
	s_cbranch_execz .LBB7_26
; %bb.25:
	ds_write_b32 v13, v7
	ds_write_b32 v11, v6
	ds_write_b32 v12, v9
	ds_write_b32 v14, v8
.LBB7_26:
	s_or_b64 exec, exec, s[4:5]
	v_cmp_gt_u32_e32 vcc, 32, v0
	s_waitcnt lgkmcnt(0)
	s_barrier
	s_and_saveexec_b64 s[4:5], vcc
	s_cbranch_execz .LBB7_28
; %bb.27:
	ds_read_b32 v14, v14
	ds_read_b32 v12, v12 offset:128
	ds_read2_b32 v[6:7], v13 offset1:32
	s_waitcnt lgkmcnt(1)
	v_mul_f32_e32 v8, v14, v12
	s_waitcnt lgkmcnt(0)
	v_fma_f32 v13, v7, v6, -v8
	v_div_scale_f32 v15, s[6:7], v13, v13, 1.0
	v_rcp_f32_e32 v16, v15
	ds_read2_b32 v[8:9], v11 offset1:32
	v_div_scale_f32 v11, vcc, 1.0, v13, 1.0
	v_fma_f32 v17, -v15, v16, 1.0
	v_fmac_f32_e32 v16, v17, v16
	v_mul_f32_e32 v17, v11, v16
	v_fma_f32 v18, -v15, v17, v11
	v_fmac_f32_e32 v17, v18, v16
	v_fma_f32 v11, -v15, v17, v11
	v_div_fmas_f32 v11, v11, v16, v17
	v_div_fixup_f32 v11, v11, v13, 1.0
	s_waitcnt lgkmcnt(0)
	v_mul_f32_e32 v13, v14, v9
	v_fma_f32 v7, v7, v8, -v13
	v_mul_f32_e32 v8, v12, v8
	v_fma_f32 v6, v6, v9, -v8
	v_mul_f32_e32 v7, v11, v7
	v_mul_f32_e32 v6, v11, v6
	v_add_u32_e32 v8, 0x1400, v1
	ds_write2_b32 v8, v7, v6 offset0:192 offset1:224
.LBB7_28:
	s_or_b64 exec, exec, s[4:5]
	s_waitcnt lgkmcnt(0)
	s_barrier
	s_and_saveexec_b64 s[4:5], s[2:3]
	s_cbranch_execz .LBB7_30
; %bb.29:
	ds_read_b32 v6, v1 offset:5888
	s_waitcnt lgkmcnt(0)
	ds_write_b32 v10, v6 offset:3068
.LBB7_30:
	s_or_b64 exec, exec, s[4:5]
	s_waitcnt lgkmcnt(0)
	s_barrier
	s_and_saveexec_b64 s[4:5], s[2:3]
	s_cbranch_execz .LBB7_34
; %bb.31:
	v_lshlrev_b32_e32 v6, 4, v0
	ds_read_b32 v7, v6 offset:4100
	v_cmp_ne_u32_e32 vcc, 0, v0
	v_lshlrev_b32_e32 v6, 2, v1
	s_and_saveexec_b64 s[2:3], vcc
	s_cbranch_execz .LBB7_33
; %bb.32:
	ds_read_b32 v8, v6 offset:4
	ds_read_b32 v9, v6 offset:3068
	s_waitcnt lgkmcnt(0)
	v_fma_f32 v7, -v8, v9, v7
.LBB7_33:
	s_or_b64 exec, exec, s[2:3]
	v_add_u32_e32 v8, 4, v6
	ds_read_b32 v10, v6 offset:3084
	ds_read2st64_b32 v[8:9], v8 offset0:4 offset1:8
	s_waitcnt lgkmcnt(0)
	v_fma_f32 v7, -v9, v10, v7
	v_div_scale_f32 v9, s[2:3], v8, v8, v7
	v_rcp_f32_e32 v10, v9
	v_div_scale_f32 v11, vcc, v7, v8, v7
	v_fma_f32 v12, -v9, v10, 1.0
	v_fmac_f32_e32 v10, v12, v10
	v_mul_f32_e32 v12, v11, v10
	v_fma_f32 v13, -v9, v12, v11
	v_fmac_f32_e32 v12, v13, v10
	v_fma_f32 v9, -v9, v12, v11
	v_div_fmas_f32 v9, v9, v10, v12
	v_div_fixup_f32 v7, v9, v8, v7
	ds_write_b32 v6, v7 offset:3076
.LBB7_34:
	s_or_b64 exec, exec, s[4:5]
	s_waitcnt lgkmcnt(0)
	s_barrier
	s_and_saveexec_b64 s[2:3], s[0:1]
	s_cbranch_execz .LBB7_38
; %bb.35:
	v_lshlrev_b32_e32 v6, 3, v0
	ds_read_b32 v6, v6 offset:4096
	v_lshlrev_b32_e32 v7, 1, v0
	v_cmp_ne_u32_e32 vcc, 0, v0
	v_lshlrev_b32_e32 v0, 2, v7
	s_and_saveexec_b64 s[0:1], vcc
	s_cbranch_execz .LBB7_37
; %bb.36:
	ds_read_b32 v7, v0
	ds_read_b32 v8, v0 offset:3068
	s_waitcnt lgkmcnt(0)
	v_fma_f32 v6, -v7, v8, v6
.LBB7_37:
	s_or_b64 exec, exec, s[0:1]
	ds_read2st64_b32 v[8:9], v0 offset0:4 offset1:8
	ds_read_b32 v7, v0 offset:3076
	s_waitcnt lgkmcnt(0)
	v_fma_f32 v6, -v9, v7, v6
	v_div_scale_f32 v7, s[0:1], v8, v8, v6
	v_rcp_f32_e32 v9, v7
	v_div_scale_f32 v10, vcc, v6, v8, v6
	v_fma_f32 v11, -v7, v9, 1.0
	v_fmac_f32_e32 v9, v11, v9
	v_mul_f32_e32 v11, v10, v9
	v_fma_f32 v12, -v7, v11, v10
	v_fmac_f32_e32 v11, v12, v9
	v_fma_f32 v7, -v7, v11, v10
	v_div_fmas_f32 v7, v7, v9, v11
	v_div_fixup_f32 v6, v7, v8, v6
	ds_write_b32 v0, v6 offset:3072
.LBB7_38:
	s_or_b64 exec, exec, s[2:3]
	s_waitcnt lgkmcnt(0)
	s_barrier
	ds_read2st64_b32 v[0:1], v1 offset0:12 offset1:14
	s_waitcnt lgkmcnt(0)
	global_store_dword v[2:3], v0, off
	global_store_dword v[4:5], v1, off
	s_endpgm
	.section	.rodata,"a",@progbits
	.p2align	6, 0x0
	.amdhsa_kernel _ZN9rocsparseL51gtsv_nopivot_strided_batch_crpcr_pow2_shared_kernelILj128ELj64EfEEviiiPKT1_S3_S3_PS1_
		.amdhsa_group_segment_fixed_size 6400
		.amdhsa_private_segment_fixed_size 0
		.amdhsa_kernarg_size 48
		.amdhsa_user_sgpr_count 2
		.amdhsa_user_sgpr_dispatch_ptr 0
		.amdhsa_user_sgpr_queue_ptr 0
		.amdhsa_user_sgpr_kernarg_segment_ptr 1
		.amdhsa_user_sgpr_dispatch_id 0
		.amdhsa_user_sgpr_kernarg_preload_length 0
		.amdhsa_user_sgpr_kernarg_preload_offset 0
		.amdhsa_user_sgpr_private_segment_size 0
		.amdhsa_uses_dynamic_stack 0
		.amdhsa_enable_private_segment 0
		.amdhsa_system_sgpr_workgroup_id_x 1
		.amdhsa_system_sgpr_workgroup_id_y 0
		.amdhsa_system_sgpr_workgroup_id_z 0
		.amdhsa_system_sgpr_workgroup_info 0
		.amdhsa_system_vgpr_workitem_id 0
		.amdhsa_next_free_vgpr 29
		.amdhsa_next_free_sgpr 12
		.amdhsa_accum_offset 32
		.amdhsa_reserve_vcc 1
		.amdhsa_float_round_mode_32 0
		.amdhsa_float_round_mode_16_64 0
		.amdhsa_float_denorm_mode_32 3
		.amdhsa_float_denorm_mode_16_64 3
		.amdhsa_dx10_clamp 1
		.amdhsa_ieee_mode 1
		.amdhsa_fp16_overflow 0
		.amdhsa_tg_split 0
		.amdhsa_exception_fp_ieee_invalid_op 0
		.amdhsa_exception_fp_denorm_src 0
		.amdhsa_exception_fp_ieee_div_zero 0
		.amdhsa_exception_fp_ieee_overflow 0
		.amdhsa_exception_fp_ieee_underflow 0
		.amdhsa_exception_fp_ieee_inexact 0
		.amdhsa_exception_int_div_zero 0
	.end_amdhsa_kernel
	.section	.text._ZN9rocsparseL51gtsv_nopivot_strided_batch_crpcr_pow2_shared_kernelILj128ELj64EfEEviiiPKT1_S3_S3_PS1_,"axG",@progbits,_ZN9rocsparseL51gtsv_nopivot_strided_batch_crpcr_pow2_shared_kernelILj128ELj64EfEEviiiPKT1_S3_S3_PS1_,comdat
.Lfunc_end7:
	.size	_ZN9rocsparseL51gtsv_nopivot_strided_batch_crpcr_pow2_shared_kernelILj128ELj64EfEEviiiPKT1_S3_S3_PS1_, .Lfunc_end7-_ZN9rocsparseL51gtsv_nopivot_strided_batch_crpcr_pow2_shared_kernelILj128ELj64EfEEviiiPKT1_S3_S3_PS1_
                                        ; -- End function
	.set _ZN9rocsparseL51gtsv_nopivot_strided_batch_crpcr_pow2_shared_kernelILj128ELj64EfEEviiiPKT1_S3_S3_PS1_.num_vgpr, 29
	.set _ZN9rocsparseL51gtsv_nopivot_strided_batch_crpcr_pow2_shared_kernelILj128ELj64EfEEviiiPKT1_S3_S3_PS1_.num_agpr, 0
	.set _ZN9rocsparseL51gtsv_nopivot_strided_batch_crpcr_pow2_shared_kernelILj128ELj64EfEEviiiPKT1_S3_S3_PS1_.numbered_sgpr, 12
	.set _ZN9rocsparseL51gtsv_nopivot_strided_batch_crpcr_pow2_shared_kernelILj128ELj64EfEEviiiPKT1_S3_S3_PS1_.num_named_barrier, 0
	.set _ZN9rocsparseL51gtsv_nopivot_strided_batch_crpcr_pow2_shared_kernelILj128ELj64EfEEviiiPKT1_S3_S3_PS1_.private_seg_size, 0
	.set _ZN9rocsparseL51gtsv_nopivot_strided_batch_crpcr_pow2_shared_kernelILj128ELj64EfEEviiiPKT1_S3_S3_PS1_.uses_vcc, 1
	.set _ZN9rocsparseL51gtsv_nopivot_strided_batch_crpcr_pow2_shared_kernelILj128ELj64EfEEviiiPKT1_S3_S3_PS1_.uses_flat_scratch, 0
	.set _ZN9rocsparseL51gtsv_nopivot_strided_batch_crpcr_pow2_shared_kernelILj128ELj64EfEEviiiPKT1_S3_S3_PS1_.has_dyn_sized_stack, 0
	.set _ZN9rocsparseL51gtsv_nopivot_strided_batch_crpcr_pow2_shared_kernelILj128ELj64EfEEviiiPKT1_S3_S3_PS1_.has_recursion, 0
	.set _ZN9rocsparseL51gtsv_nopivot_strided_batch_crpcr_pow2_shared_kernelILj128ELj64EfEEviiiPKT1_S3_S3_PS1_.has_indirect_call, 0
	.section	.AMDGPU.csdata,"",@progbits
; Kernel info:
; codeLenInByte = 3556
; TotalNumSgprs: 18
; NumVgprs: 29
; NumAgprs: 0
; TotalNumVgprs: 29
; ScratchSize: 0
; MemoryBound: 0
; FloatMode: 240
; IeeeMode: 1
; LDSByteSize: 6400 bytes/workgroup (compile time only)
; SGPRBlocks: 2
; VGPRBlocks: 3
; NumSGPRsForWavesPerEU: 18
; NumVGPRsForWavesPerEU: 29
; AccumOffset: 32
; Occupancy: 8
; WaveLimiterHint : 0
; COMPUTE_PGM_RSRC2:SCRATCH_EN: 0
; COMPUTE_PGM_RSRC2:USER_SGPR: 2
; COMPUTE_PGM_RSRC2:TRAP_HANDLER: 0
; COMPUTE_PGM_RSRC2:TGID_X_EN: 1
; COMPUTE_PGM_RSRC2:TGID_Y_EN: 0
; COMPUTE_PGM_RSRC2:TGID_Z_EN: 0
; COMPUTE_PGM_RSRC2:TIDIG_COMP_CNT: 0
; COMPUTE_PGM_RSRC3_GFX90A:ACCUM_OFFSET: 7
; COMPUTE_PGM_RSRC3_GFX90A:TG_SPLIT: 0
	.section	.text._ZN9rocsparseL51gtsv_nopivot_strided_batch_crpcr_pow2_shared_kernelILj256ELj64EfEEviiiPKT1_S3_S3_PS1_,"axG",@progbits,_ZN9rocsparseL51gtsv_nopivot_strided_batch_crpcr_pow2_shared_kernelILj256ELj64EfEEviiiPKT1_S3_S3_PS1_,comdat
	.globl	_ZN9rocsparseL51gtsv_nopivot_strided_batch_crpcr_pow2_shared_kernelILj256ELj64EfEEviiiPKT1_S3_S3_PS1_ ; -- Begin function _ZN9rocsparseL51gtsv_nopivot_strided_batch_crpcr_pow2_shared_kernelILj256ELj64EfEEviiiPKT1_S3_S3_PS1_
	.p2align	8
	.type	_ZN9rocsparseL51gtsv_nopivot_strided_batch_crpcr_pow2_shared_kernelILj256ELj64EfEEviiiPKT1_S3_S3_PS1_,@function
_ZN9rocsparseL51gtsv_nopivot_strided_batch_crpcr_pow2_shared_kernelILj256ELj64EfEEviiiPKT1_S3_S3_PS1_: ; @_ZN9rocsparseL51gtsv_nopivot_strided_batch_crpcr_pow2_shared_kernelILj256ELj64EfEEviiiPKT1_S3_S3_PS1_
; %bb.0:
	s_load_dword s3, s[0:1], 0x8
	s_load_dwordx8 s[4:11], s[0:1], 0x10
	v_mov_b32_e32 v5, 0
	s_movk_i32 s0, 0x100
	v_lshlrev_b32_e32 v1, 2, v0
	s_waitcnt lgkmcnt(0)
	s_mul_i32 s3, s3, s2
	v_add_u32_e32 v2, s3, v0
	v_ashrrev_i32_e32 v3, 31, v2
	v_add_u32_e32 v4, 0x100, v2
	v_lshlrev_b64 v[2:3], 2, v[2:3]
	v_lshl_add_u64 v[6:7], s[4:5], 0, v[2:3]
	v_lshlrev_b64 v[4:5], 2, v[4:5]
	v_lshl_add_u64 v[8:9], s[4:5], 0, v[4:5]
	global_load_dword v10, v[6:7], off
	global_load_dword v11, v[8:9], off
	v_lshl_add_u64 v[6:7], s[6:7], 0, v[2:3]
	v_lshl_add_u64 v[8:9], s[6:7], 0, v[4:5]
	global_load_dword v12, v[6:7], off
	global_load_dword v13, v[8:9], off
	v_lshl_add_u64 v[6:7], s[8:9], 0, v[2:3]
	v_lshl_add_u64 v[2:3], s[10:11], 0, v[2:3]
	;; [unrolled: 1-line block ×3, first 2 shown]
	global_load_dword v14, v[6:7], off
	global_load_dword v16, v[8:9], off
	v_lshl_add_u64 v[4:5], s[10:11], 0, v[4:5]
	global_load_dword v6, v[2:3], off
	global_load_dword v7, v[4:5], off
	v_add_u32_e32 v15, 1, v0
	v_cmp_gt_u32_e64 s[0:1], s0, v0
	s_waitcnt vmcnt(6)
	ds_write2st64_b32 v1, v10, v11 offset1:4
	s_waitcnt vmcnt(4)
	ds_write2st64_b32 v1, v12, v13 offset0:8 offset1:12
	s_waitcnt vmcnt(2)
	ds_write2st64_b32 v1, v14, v16 offset0:16 offset1:20
	;; [unrolled: 2-line block ×3, first 2 shown]
	s_waitcnt lgkmcnt(0)
	s_barrier
	s_and_saveexec_b64 s[2:3], s[0:1]
	s_cbranch_execz .LBB8_2
; %bb.1:
	v_lshlrev_b32_e32 v6, 1, v15
	v_lshlrev_b32_e32 v14, 3, v15
	v_min_u32_e32 v10, 0x1ff, v6
	v_add_u32_e32 v6, 0x1f8, v14
	v_lshlrev_b32_e32 v20, 2, v10
	ds_read2st64_b64 v[6:9], v6 offset0:3 offset1:7
	ds_read2st64_b32 v[10:11], v20 offset1:8
	v_add_u32_e32 v12, -8, v14
	ds_read_b64 v[12:13], v12
	v_add_u32_e32 v21, -4, v14
	s_waitcnt lgkmcnt(1)
	v_div_scale_f32 v16, s[4:5], v11, v11, v9
	v_rcp_f32_e32 v18, v16
	s_nop 0
	v_fma_f32 v17, -v16, v18, 1.0
	v_fmac_f32_e32 v18, v17, v18
	v_div_scale_f32 v17, vcc, v9, v11, v9
	v_mul_f32_e32 v19, v17, v18
	v_fma_f32 v22, -v16, v19, v17
	v_fmac_f32_e32 v19, v22, v18
	v_fma_f32 v22, -v16, v19, v17
	ds_read_b64 v[16:17], v14 offset:8184
	s_waitcnt lgkmcnt(1)
	v_div_scale_f32 v23, s[4:5], v6, v6, v13
	v_rcp_f32_e32 v24, v23
	v_div_fmas_f32 v18, v22, v18, v19
	v_div_fixup_f32 v19, v18, v11, v9
	v_fma_f32 v9, -v23, v24, 1.0
	v_fmac_f32_e32 v24, v9, v24
	v_div_scale_f32 v9, vcc, v13, v6, v13
	v_mul_f32_e32 v11, v9, v24
	v_fma_f32 v18, -v23, v11, v9
	v_fmac_f32_e32 v11, v18, v24
	v_fma_f32 v9, -v23, v11, v9
	v_div_fmas_f32 v9, v9, v24, v11
	v_div_fixup_f32 v18, v9, v6, v13
	v_mov_b32_e32 v9, v10
	ds_read2st64_b32 v[10:11], v20 offset0:16 offset1:32
	v_pk_mul_f32 v[8:9], v[18:19], v[8:9]
	s_nop 0
	v_sub_f32_e32 v6, v7, v8
	v_sub_f32_e32 v8, v6, v9
	s_waitcnt lgkmcnt(1)
	v_mov_b32_e32 v6, v16
	s_waitcnt lgkmcnt(0)
	v_mov_b32_e32 v7, v11
	v_pk_mul_f32 v[6:7], v[18:19], v[6:7]
	s_nop 0
	v_sub_f32_e32 v6, v17, v6
	v_sub_f32_e32 v6, v6, v7
	ds_write_b32 v14, v6 offset:8188
	v_mul_f32_e64 v6, v18, -v12
	ds_write_b32 v21, v6
	v_mul_f32_e64 v6, v19, -v10
	v_add_u32_e32 v7, 0xfc, v14
	ds_write2st64_b32 v7, v8, v6 offset0:7 offset1:15
.LBB8_2:
	s_or_b64 exec, exec, s[2:3]
	s_movk_i32 s2, 0x80
	v_cmp_gt_u32_e64 s[2:3], s2, v0
	s_waitcnt lgkmcnt(0)
	s_barrier
	s_and_saveexec_b64 s[4:5], s[2:3]
	s_cbranch_execz .LBB8_4
; %bb.3:
	v_lshlrev_b32_e32 v14, 4, v15
	v_lshl_or_b32 v6, v15, 2, 1
	v_min_u32_e32 v10, 0x1ff, v6
	v_add_u32_e32 v18, -4, v14
	v_add_u32_e32 v6, 0x400, v14
	ds_read_b32 v12, v18
	ds_read2_b32 v[6:7], v6 offset0:253 offset1:255
	v_add_u32_e32 v8, -12, v14
	ds_read_b32 v19, v8
	v_add_u32_e32 v9, 0xc00, v14
	v_lshlrev_b32_e32 v17, 2, v10
	s_waitcnt lgkmcnt(1)
	v_div_scale_f32 v13, s[6:7], v6, v6, v12
	v_rcp_f32_e32 v16, v13
	ds_read2_b32 v[8:9], v9 offset0:253 offset1:255
	ds_read2st64_b32 v[10:11], v17 offset1:8
	v_fma_f32 v20, -v13, v16, 1.0
	v_fmac_f32_e32 v16, v20, v16
	v_div_scale_f32 v20, vcc, v12, v6, v12
	v_mul_f32_e32 v21, v20, v16
	v_fma_f32 v22, -v13, v21, v20
	v_fmac_f32_e32 v21, v22, v16
	v_fma_f32 v13, -v13, v21, v20
	s_waitcnt lgkmcnt(0)
	v_div_scale_f32 v20, s[6:7], v11, v11, v9
	v_rcp_f32_e32 v22, v20
	v_div_fmas_f32 v13, v13, v16, v21
	v_div_fixup_f32 v12, v13, v6, v12
	v_fma_f32 v6, -v20, v22, 1.0
	v_fmac_f32_e32 v22, v6, v22
	v_div_scale_f32 v6, vcc, v9, v11, v9
	v_mul_f32_e32 v13, v6, v22
	v_fma_f32 v16, -v20, v13, v6
	v_fmac_f32_e32 v13, v16, v22
	v_fma_f32 v6, -v20, v13, v6
	v_div_fmas_f32 v6, v6, v22, v13
	v_div_fixup_f32 v13, v6, v11, v9
	v_add_u32_e32 v6, 0x1c00, v14
	v_mov_b32_e32 v9, v10
	ds_read2_b32 v[10:11], v6 offset0:253 offset1:255
	ds_read2st64_b32 v[16:17], v17 offset0:16 offset1:32
	v_pk_mul_f32 v[8:9], v[12:13], v[8:9]
	s_nop 0
	v_sub_f32_e32 v6, v7, v8
	v_sub_f32_e32 v8, v6, v9
	s_waitcnt lgkmcnt(1)
	v_mov_b32_e32 v6, v10
	s_waitcnt lgkmcnt(0)
	v_mov_b32_e32 v7, v17
	v_pk_mul_f32 v[6:7], v[12:13], v[6:7]
	s_nop 0
	v_sub_f32_e32 v6, v11, v6
	v_sub_f32_e32 v6, v6, v7
	ds_write_b32 v14, v6 offset:8188
	v_mul_f32_e64 v6, v12, -v19
	ds_write_b32 v18, v6
	v_mul_f32_e64 v6, v13, -v16
	v_add_u32_e32 v7, 0xfc, v14
	ds_write2st64_b32 v7, v8, v6 offset0:7 offset1:15
.LBB8_4:
	s_or_b64 exec, exec, s[4:5]
	v_cmp_gt_u32_e64 s[4:5], 64, v0
	v_lshlrev_b32_e32 v10, 5, v15
	s_waitcnt lgkmcnt(0)
	s_barrier
	s_and_saveexec_b64 s[6:7], s[4:5]
	s_cbranch_execz .LBB8_6
; %bb.5:
	v_lshl_or_b32 v6, v15, 3, 3
	v_min_u32_e32 v11, 0x1ff, v6
	v_add_u32_e32 v14, -4, v10
	v_add_u32_e32 v6, 0x400, v10
	ds_read_b32 v16, v14
	ds_read2_b32 v[6:7], v6 offset0:251 offset1:255
	v_subrev_u32_e32 v8, 20, v10
	ds_read_b32 v20, v8
	v_add_u32_e32 v9, 0xc00, v10
	v_lshlrev_b32_e32 v11, 2, v11
	s_waitcnt lgkmcnt(1)
	v_div_scale_f32 v17, s[8:9], v6, v6, v16
	v_rcp_f32_e32 v18, v17
	ds_read2_b32 v[8:9], v9 offset0:251 offset1:255
	ds_read2st64_b32 v[12:13], v11 offset1:8
	v_fma_f32 v19, -v17, v18, 1.0
	v_fmac_f32_e32 v18, v19, v18
	v_div_scale_f32 v19, vcc, v16, v6, v16
	v_mul_f32_e32 v21, v19, v18
	v_fma_f32 v22, -v17, v21, v19
	v_fmac_f32_e32 v21, v22, v18
	v_fma_f32 v17, -v17, v21, v19
	s_waitcnt lgkmcnt(0)
	v_div_scale_f32 v19, s[8:9], v13, v13, v9
	v_rcp_f32_e32 v22, v19
	v_div_fmas_f32 v17, v17, v18, v21
	v_div_fixup_f32 v16, v17, v6, v16
	v_fma_f32 v6, -v19, v22, 1.0
	v_fmac_f32_e32 v22, v6, v22
	v_div_scale_f32 v6, vcc, v9, v13, v9
	v_mul_f32_e32 v17, v6, v22
	v_fma_f32 v18, -v19, v17, v6
	v_fmac_f32_e32 v17, v18, v22
	v_fma_f32 v6, -v19, v17, v6
	v_div_fmas_f32 v6, v6, v22, v17
	v_div_fixup_f32 v17, v6, v13, v9
	v_add_u32_e32 v6, 0x1c00, v10
	v_mov_b32_e32 v9, v12
	ds_read2_b32 v[12:13], v6 offset0:251 offset1:255
	ds_read2st64_b32 v[18:19], v11 offset0:16 offset1:32
	v_pk_mul_f32 v[8:9], v[16:17], v[8:9]
	s_nop 0
	v_sub_f32_e32 v6, v7, v8
	v_sub_f32_e32 v8, v6, v9
	s_waitcnt lgkmcnt(1)
	v_mov_b32_e32 v6, v12
	s_waitcnt lgkmcnt(0)
	v_mov_b32_e32 v7, v19
	v_pk_mul_f32 v[6:7], v[16:17], v[6:7]
	s_nop 0
	v_sub_f32_e32 v6, v13, v6
	v_sub_f32_e32 v6, v6, v7
	ds_write_b32 v10, v6 offset:8188
	v_mul_f32_e64 v6, v16, -v20
	ds_write_b32 v14, v6
	v_mul_f32_e64 v6, v17, -v18
	v_add_u32_e32 v7, 0xfc, v10
	ds_write2st64_b32 v7, v8, v6 offset0:7 offset1:15
.LBB8_6:
	s_or_b64 exec, exec, s[6:7]
	s_waitcnt lgkmcnt(0)
	s_barrier
	s_and_saveexec_b64 s[6:7], s[4:5]
	s_cbranch_execz .LBB8_8
; %bb.7:
	v_add_u32_e32 v8, -4, v10
	v_add_u32_e32 v6, 0xfc, v10
	ds_read2st64_b32 v[6:7], v6 offset0:7 offset1:15
	ds_read_b32 v8, v8
	ds_read_b32 v9, v10 offset:8188
	s_waitcnt lgkmcnt(1)
	ds_write2st64_b32 v1, v8, v6 offset0:40 offset1:41
	s_waitcnt lgkmcnt(1)
	ds_write2st64_b32 v1, v7, v9 offset0:42 offset1:44
.LBB8_8:
	s_or_b64 exec, exec, s[6:7]
	v_or_b32_e32 v12, 0x2800, v1
	v_add_u32_e32 v14, 0x2a00, v1
	v_add_u32_e32 v13, 0x2900, v1
	v_or_b32_e32 v11, 0x2c00, v1
	s_waitcnt lgkmcnt(0)
	s_barrier
                                        ; implicit-def: $vgpr6_vgpr7
                                        ; implicit-def: $vgpr8_vgpr9
	s_and_saveexec_b64 s[6:7], s[4:5]
	s_cbranch_execz .LBB8_10
; %bb.9:
	v_sub_u32_e64 v7, v0, 1 clamp
	v_min_u32_e32 v6, 63, v15
	v_lshlrev_b32_e32 v15, 2, v7
	ds_read2st64_b32 v[8:9], v15 offset0:40 offset1:41
	v_lshlrev_b32_e32 v18, 2, v6
	ds_read2st64_b32 v[6:7], v18 offset0:40 offset1:41
	ds_read2st64_b32 v[22:23], v15 offset0:42 offset1:44
	ds_read_b32 v15, v12
	ds_read_b32 v24, v14
	;; [unrolled: 1-line block ×4, first 2 shown]
	ds_read2st64_b32 v[18:19], v18 offset0:42 offset1:44
	s_waitcnt lgkmcnt(5)
	v_mov_b32_e32 v20, v23
	v_mov_b32_e32 v23, v6
	s_waitcnt lgkmcnt(4)
	v_div_scale_f32 v25, s[8:9], v9, v9, v15
	v_rcp_f32_e32 v26, v25
	v_mov_b32_e32 v21, v22
	s_waitcnt lgkmcnt(0)
	v_mov_b32_e32 v22, v19
	v_fma_f32 v6, -v25, v26, 1.0
	v_fmac_f32_e32 v26, v6, v26
	v_div_scale_f32 v6, vcc, v15, v9, v15
	v_mul_f32_e32 v19, v6, v26
	v_fma_f32 v27, -v25, v19, v6
	v_fmac_f32_e32 v19, v27, v26
	v_div_scale_f32 v27, s[8:9], v7, v7, v24
	v_rcp_f32_e32 v28, v27
	v_fma_f32 v6, -v25, v19, v6
	v_div_fmas_f32 v6, v6, v26, v19
	v_div_fixup_f32 v25, v6, v9, v15
	v_fma_f32 v6, -v27, v28, 1.0
	v_fmac_f32_e32 v28, v6, v28
	v_div_scale_f32 v6, vcc, v24, v7, v24
	v_mul_f32_e32 v9, v6, v28
	v_fma_f32 v15, -v27, v9, v6
	v_fmac_f32_e32 v9, v15, v28
	v_fma_f32 v6, -v27, v9, v6
	v_div_fmas_f32 v6, v6, v28, v9
	v_div_fixup_f32 v24, v6, v7, v24
	v_mov_b32_e32 v6, v25
	v_pk_fma_f32 v[6:7], v[6:7], v[20:21], v[16:17] op_sel_hi:[0,1,1] neg_lo:[1,0,0] neg_hi:[1,0,0]
	v_mov_b32_e32 v19, v8
	v_pk_fma_f32 v[6:7], v[24:25], v[22:23], v[6:7] op_sel_hi:[0,1,1] neg_lo:[1,0,0] neg_hi:[1,0,0]
	v_pk_mul_f32 v[8:9], v[24:25], v[18:19] neg_lo:[0,1] neg_hi:[0,1]
.LBB8_10:
	s_or_b64 exec, exec, s[6:7]
	s_barrier
	s_and_saveexec_b64 s[6:7], s[4:5]
	s_cbranch_execz .LBB8_12
; %bb.11:
	ds_write_b32 v13, v7
	ds_write_b32 v11, v6
	ds_write_b32 v12, v9
	ds_write_b32 v14, v8
.LBB8_12:
	s_or_b64 exec, exec, s[6:7]
	s_waitcnt lgkmcnt(0)
	s_barrier
	s_and_saveexec_b64 s[6:7], s[4:5]
	s_cbranch_execz .LBB8_14
; %bb.13:
	v_sub_u32_e64 v7, v0, 2 clamp
	v_lshlrev_b32_e32 v15, 2, v7
	ds_read2st64_b32 v[8:9], v15 offset0:40 offset1:41
	v_min_u32_e32 v6, 61, v0
	v_lshlrev_b32_e32 v6, 2, v6
	v_add_u32_e32 v18, 8, v6
	ds_read2st64_b32 v[6:7], v18 offset0:40 offset1:41
	ds_read2st64_b32 v[22:23], v15 offset0:42 offset1:44
	ds_read_b32 v15, v12
	ds_read_b32 v24, v14
	ds_read_b32 v17, v13
	ds_read_b32 v16, v11
	ds_read2st64_b32 v[18:19], v18 offset0:42 offset1:44
	s_waitcnt lgkmcnt(4)
	v_div_scale_f32 v25, s[8:9], v9, v9, v15
	v_rcp_f32_e32 v26, v25
	v_mov_b32_e32 v20, v23
	v_mov_b32_e32 v23, v6
	v_mov_b32_e32 v21, v22
	v_fma_f32 v6, -v25, v26, 1.0
	v_fmac_f32_e32 v26, v6, v26
	v_div_scale_f32 v6, vcc, v15, v9, v15
	s_waitcnt lgkmcnt(0)
	v_mov_b32_e32 v22, v19
	v_mul_f32_e32 v19, v6, v26
	v_fma_f32 v27, -v25, v19, v6
	v_fmac_f32_e32 v19, v27, v26
	v_div_scale_f32 v27, s[8:9], v7, v7, v24
	v_rcp_f32_e32 v28, v27
	v_fma_f32 v6, -v25, v19, v6
	v_div_fmas_f32 v6, v6, v26, v19
	v_div_fixup_f32 v25, v6, v9, v15
	v_fma_f32 v6, -v27, v28, 1.0
	v_fmac_f32_e32 v28, v6, v28
	v_div_scale_f32 v6, vcc, v24, v7, v24
	v_mul_f32_e32 v9, v6, v28
	v_fma_f32 v15, -v27, v9, v6
	v_fmac_f32_e32 v9, v15, v28
	v_fma_f32 v6, -v27, v9, v6
	v_div_fmas_f32 v6, v6, v28, v9
	v_div_fixup_f32 v24, v6, v7, v24
	v_mov_b32_e32 v6, v25
	v_pk_fma_f32 v[6:7], v[6:7], v[20:21], v[16:17] op_sel_hi:[0,1,1] neg_lo:[1,0,0] neg_hi:[1,0,0]
	v_mov_b32_e32 v19, v8
	v_pk_fma_f32 v[6:7], v[24:25], v[22:23], v[6:7] op_sel_hi:[0,1,1] neg_lo:[1,0,0] neg_hi:[1,0,0]
	v_pk_mul_f32 v[8:9], v[24:25], v[18:19] neg_lo:[0,1] neg_hi:[0,1]
.LBB8_14:
	s_or_b64 exec, exec, s[6:7]
	s_barrier
	s_and_saveexec_b64 s[6:7], s[4:5]
	s_cbranch_execz .LBB8_16
; %bb.15:
	ds_write_b32 v13, v7
	ds_write_b32 v11, v6
	ds_write_b32 v12, v9
	ds_write_b32 v14, v8
.LBB8_16:
	s_or_b64 exec, exec, s[6:7]
	s_waitcnt lgkmcnt(0)
	s_barrier
	s_and_saveexec_b64 s[6:7], s[4:5]
	s_cbranch_execz .LBB8_18
; %bb.17:
	v_sub_u32_e64 v7, v0, 4 clamp
	v_lshlrev_b32_e32 v15, 2, v7
	ds_read2st64_b32 v[8:9], v15 offset0:40 offset1:41
	v_min_u32_e32 v6, 59, v0
	v_lshlrev_b32_e32 v6, 2, v6
	v_add_u32_e32 v18, 16, v6
	ds_read2st64_b32 v[6:7], v18 offset0:40 offset1:41
	ds_read2st64_b32 v[22:23], v15 offset0:42 offset1:44
	ds_read_b32 v15, v12
	ds_read_b32 v24, v14
	ds_read_b32 v17, v13
	ds_read_b32 v16, v11
	ds_read2st64_b32 v[18:19], v18 offset0:42 offset1:44
	s_waitcnt lgkmcnt(4)
	v_div_scale_f32 v25, s[8:9], v9, v9, v15
	v_rcp_f32_e32 v26, v25
	v_mov_b32_e32 v20, v23
	v_mov_b32_e32 v23, v6
	v_mov_b32_e32 v21, v22
	v_fma_f32 v6, -v25, v26, 1.0
	v_fmac_f32_e32 v26, v6, v26
	v_div_scale_f32 v6, vcc, v15, v9, v15
	s_waitcnt lgkmcnt(0)
	v_mov_b32_e32 v22, v19
	v_mul_f32_e32 v19, v6, v26
	v_fma_f32 v27, -v25, v19, v6
	v_fmac_f32_e32 v19, v27, v26
	v_div_scale_f32 v27, s[8:9], v7, v7, v24
	v_rcp_f32_e32 v28, v27
	v_fma_f32 v6, -v25, v19, v6
	v_div_fmas_f32 v6, v6, v26, v19
	v_div_fixup_f32 v25, v6, v9, v15
	v_fma_f32 v6, -v27, v28, 1.0
	v_fmac_f32_e32 v28, v6, v28
	v_div_scale_f32 v6, vcc, v24, v7, v24
	v_mul_f32_e32 v9, v6, v28
	v_fma_f32 v15, -v27, v9, v6
	v_fmac_f32_e32 v9, v15, v28
	v_fma_f32 v6, -v27, v9, v6
	v_div_fmas_f32 v6, v6, v28, v9
	v_div_fixup_f32 v24, v6, v7, v24
	v_mov_b32_e32 v6, v25
	v_pk_fma_f32 v[6:7], v[6:7], v[20:21], v[16:17] op_sel_hi:[0,1,1] neg_lo:[1,0,0] neg_hi:[1,0,0]
	v_mov_b32_e32 v19, v8
	v_pk_fma_f32 v[6:7], v[24:25], v[22:23], v[6:7] op_sel_hi:[0,1,1] neg_lo:[1,0,0] neg_hi:[1,0,0]
	v_pk_mul_f32 v[8:9], v[24:25], v[18:19] neg_lo:[0,1] neg_hi:[0,1]
.LBB8_18:
	;; [unrolled: 63-line block ×4, first 2 shown]
	s_or_b64 exec, exec, s[6:7]
	s_barrier
	s_and_saveexec_b64 s[6:7], s[4:5]
	s_cbranch_execz .LBB8_28
; %bb.27:
	ds_write_b32 v13, v7
	ds_write_b32 v11, v6
	;; [unrolled: 1-line block ×4, first 2 shown]
.LBB8_28:
	s_or_b64 exec, exec, s[6:7]
	v_cmp_gt_u32_e32 vcc, 32, v0
	s_waitcnt lgkmcnt(0)
	s_barrier
	s_and_saveexec_b64 s[6:7], vcc
	s_cbranch_execz .LBB8_30
; %bb.29:
	ds_read_b32 v14, v14
	ds_read_b32 v12, v12 offset:128
	ds_read2_b32 v[6:7], v13 offset1:32
	s_waitcnt lgkmcnt(1)
	v_mul_f32_e32 v8, v14, v12
	s_waitcnt lgkmcnt(0)
	v_fma_f32 v13, v7, v6, -v8
	v_div_scale_f32 v15, s[8:9], v13, v13, 1.0
	v_rcp_f32_e32 v16, v15
	ds_read2_b32 v[8:9], v11 offset1:32
	v_div_scale_f32 v11, vcc, 1.0, v13, 1.0
	v_fma_f32 v17, -v15, v16, 1.0
	v_fmac_f32_e32 v16, v17, v16
	v_mul_f32_e32 v17, v11, v16
	v_fma_f32 v18, -v15, v17, v11
	v_fmac_f32_e32 v17, v18, v16
	v_fma_f32 v11, -v15, v17, v11
	v_div_fmas_f32 v11, v11, v16, v17
	v_div_fixup_f32 v11, v11, v13, 1.0
	s_waitcnt lgkmcnt(0)
	v_mul_f32_e32 v13, v14, v9
	v_fma_f32 v7, v7, v8, -v13
	v_mul_f32_e32 v8, v12, v8
	v_fma_f32 v6, v6, v9, -v8
	v_mul_f32_e32 v7, v11, v7
	v_mul_f32_e32 v6, v11, v6
	v_add_u32_e32 v8, 0x2800, v1
	ds_write2_b32 v8, v7, v6 offset0:192 offset1:224
.LBB8_30:
	s_or_b64 exec, exec, s[6:7]
	s_waitcnt lgkmcnt(0)
	s_barrier
	s_and_saveexec_b64 s[6:7], s[4:5]
	s_cbranch_execz .LBB8_32
; %bb.31:
	ds_read_b32 v6, v1 offset:11008
	s_waitcnt lgkmcnt(0)
	ds_write_b32 v10, v6 offset:6140
.LBB8_32:
	s_or_b64 exec, exec, s[6:7]
	v_lshlrev_b32_e32 v6, 3, v0
	s_waitcnt lgkmcnt(0)
	s_barrier
	s_and_saveexec_b64 s[6:7], s[4:5]
	s_cbranch_execz .LBB8_36
; %bb.33:
	v_lshlrev_b32_e32 v7, 5, v0
	ds_read_b32 v8, v7 offset:8204
	v_cmp_ne_u32_e32 vcc, 0, v0
	v_lshlrev_b32_e32 v7, 2, v6
	s_and_saveexec_b64 s[4:5], vcc
	s_cbranch_execz .LBB8_35
; %bb.34:
	ds_read_b32 v9, v7 offset:12
	ds_read_b32 v10, v7 offset:6140
	s_waitcnt lgkmcnt(0)
	v_fma_f32 v8, -v9, v10, v8
.LBB8_35:
	s_or_b64 exec, exec, s[4:5]
	v_add_u32_e32 v9, 12, v7
	ds_read_b32 v12, v7 offset:6172
	ds_read2st64_b32 v[10:11], v9 offset0:8 offset1:16
	s_waitcnt lgkmcnt(0)
	v_fma_f32 v8, -v11, v12, v8
	v_div_scale_f32 v9, s[4:5], v10, v10, v8
	v_rcp_f32_e32 v11, v9
	v_div_scale_f32 v12, vcc, v8, v10, v8
	v_fma_f32 v13, -v9, v11, 1.0
	v_fmac_f32_e32 v11, v13, v11
	v_mul_f32_e32 v13, v12, v11
	v_fma_f32 v14, -v9, v13, v12
	v_fmac_f32_e32 v13, v14, v11
	v_fma_f32 v9, -v9, v13, v12
	v_div_fmas_f32 v9, v9, v11, v13
	v_div_fixup_f32 v8, v9, v10, v8
	ds_write_b32 v7, v8 offset:6156
.LBB8_36:
	s_or_b64 exec, exec, s[6:7]
	s_waitcnt lgkmcnt(0)
	s_barrier
	s_and_saveexec_b64 s[4:5], s[2:3]
	s_cbranch_execz .LBB8_40
; %bb.37:
	v_lshlrev_b32_e32 v7, 4, v0
	ds_read_b32 v8, v7 offset:8196
	v_cmp_ne_u32_e32 vcc, 0, v0
	v_lshlrev_b32_e32 v7, 2, v1
	s_and_saveexec_b64 s[2:3], vcc
	s_cbranch_execz .LBB8_39
; %bb.38:
	ds_read_b32 v9, v7 offset:4
	ds_read_b32 v10, v7 offset:6140
	s_waitcnt lgkmcnt(0)
	v_fma_f32 v8, -v9, v10, v8
.LBB8_39:
	s_or_b64 exec, exec, s[2:3]
	v_add_u32_e32 v9, 4, v7
	ds_read_b32 v12, v7 offset:6156
	ds_read2st64_b32 v[10:11], v9 offset0:8 offset1:16
	s_waitcnt lgkmcnt(0)
	v_fma_f32 v8, -v11, v12, v8
	v_div_scale_f32 v9, s[2:3], v10, v10, v8
	v_rcp_f32_e32 v11, v9
	v_div_scale_f32 v12, vcc, v8, v10, v8
	v_fma_f32 v13, -v9, v11, 1.0
	v_fmac_f32_e32 v11, v13, v11
	v_mul_f32_e32 v13, v12, v11
	v_fma_f32 v14, -v9, v13, v12
	v_fmac_f32_e32 v13, v14, v11
	v_fma_f32 v9, -v9, v13, v12
	v_div_fmas_f32 v9, v9, v11, v13
	v_div_fixup_f32 v8, v9, v10, v8
	ds_write_b32 v7, v8 offset:6148
.LBB8_40:
	s_or_b64 exec, exec, s[4:5]
	s_waitcnt lgkmcnt(0)
	s_barrier
	s_and_saveexec_b64 s[2:3], s[0:1]
	s_cbranch_execz .LBB8_44
; %bb.41:
	ds_read_b32 v6, v6 offset:8192
	v_lshlrev_b32_e32 v7, 1, v0
	v_cmp_ne_u32_e32 vcc, 0, v0
	v_lshlrev_b32_e32 v0, 2, v7
	s_and_saveexec_b64 s[0:1], vcc
	s_cbranch_execz .LBB8_43
; %bb.42:
	ds_read_b32 v7, v0
	ds_read_b32 v8, v0 offset:6140
	s_waitcnt lgkmcnt(0)
	v_fma_f32 v6, -v7, v8, v6
.LBB8_43:
	s_or_b64 exec, exec, s[0:1]
	ds_read2st64_b32 v[8:9], v0 offset0:8 offset1:16
	ds_read_b32 v7, v0 offset:6148
	s_waitcnt lgkmcnt(0)
	v_fma_f32 v6, -v9, v7, v6
	v_div_scale_f32 v7, s[0:1], v8, v8, v6
	v_rcp_f32_e32 v9, v7
	v_div_scale_f32 v10, vcc, v6, v8, v6
	v_fma_f32 v11, -v7, v9, 1.0
	v_fmac_f32_e32 v9, v11, v9
	v_mul_f32_e32 v11, v10, v9
	v_fma_f32 v12, -v7, v11, v10
	v_fmac_f32_e32 v11, v12, v9
	v_fma_f32 v7, -v7, v11, v10
	v_div_fmas_f32 v7, v7, v9, v11
	v_div_fixup_f32 v6, v7, v8, v6
	ds_write_b32 v0, v6 offset:6144
.LBB8_44:
	s_or_b64 exec, exec, s[2:3]
	s_waitcnt lgkmcnt(0)
	s_barrier
	ds_read2st64_b32 v[0:1], v1 offset0:24 offset1:28
	s_waitcnt lgkmcnt(0)
	global_store_dword v[2:3], v0, off
	global_store_dword v[4:5], v1, off
	s_endpgm
	.section	.rodata,"a",@progbits
	.p2align	6, 0x0
	.amdhsa_kernel _ZN9rocsparseL51gtsv_nopivot_strided_batch_crpcr_pow2_shared_kernelILj256ELj64EfEEviiiPKT1_S3_S3_PS1_
		.amdhsa_group_segment_fixed_size 11520
		.amdhsa_private_segment_fixed_size 0
		.amdhsa_kernarg_size 48
		.amdhsa_user_sgpr_count 2
		.amdhsa_user_sgpr_dispatch_ptr 0
		.amdhsa_user_sgpr_queue_ptr 0
		.amdhsa_user_sgpr_kernarg_segment_ptr 1
		.amdhsa_user_sgpr_dispatch_id 0
		.amdhsa_user_sgpr_kernarg_preload_length 0
		.amdhsa_user_sgpr_kernarg_preload_offset 0
		.amdhsa_user_sgpr_private_segment_size 0
		.amdhsa_uses_dynamic_stack 0
		.amdhsa_enable_private_segment 0
		.amdhsa_system_sgpr_workgroup_id_x 1
		.amdhsa_system_sgpr_workgroup_id_y 0
		.amdhsa_system_sgpr_workgroup_id_z 0
		.amdhsa_system_sgpr_workgroup_info 0
		.amdhsa_system_vgpr_workitem_id 0
		.amdhsa_next_free_vgpr 29
		.amdhsa_next_free_sgpr 12
		.amdhsa_accum_offset 32
		.amdhsa_reserve_vcc 1
		.amdhsa_float_round_mode_32 0
		.amdhsa_float_round_mode_16_64 0
		.amdhsa_float_denorm_mode_32 3
		.amdhsa_float_denorm_mode_16_64 3
		.amdhsa_dx10_clamp 1
		.amdhsa_ieee_mode 1
		.amdhsa_fp16_overflow 0
		.amdhsa_tg_split 0
		.amdhsa_exception_fp_ieee_invalid_op 0
		.amdhsa_exception_fp_denorm_src 0
		.amdhsa_exception_fp_ieee_div_zero 0
		.amdhsa_exception_fp_ieee_overflow 0
		.amdhsa_exception_fp_ieee_underflow 0
		.amdhsa_exception_fp_ieee_inexact 0
		.amdhsa_exception_int_div_zero 0
	.end_amdhsa_kernel
	.section	.text._ZN9rocsparseL51gtsv_nopivot_strided_batch_crpcr_pow2_shared_kernelILj256ELj64EfEEviiiPKT1_S3_S3_PS1_,"axG",@progbits,_ZN9rocsparseL51gtsv_nopivot_strided_batch_crpcr_pow2_shared_kernelILj256ELj64EfEEviiiPKT1_S3_S3_PS1_,comdat
.Lfunc_end8:
	.size	_ZN9rocsparseL51gtsv_nopivot_strided_batch_crpcr_pow2_shared_kernelILj256ELj64EfEEviiiPKT1_S3_S3_PS1_, .Lfunc_end8-_ZN9rocsparseL51gtsv_nopivot_strided_batch_crpcr_pow2_shared_kernelILj256ELj64EfEEviiiPKT1_S3_S3_PS1_
                                        ; -- End function
	.set _ZN9rocsparseL51gtsv_nopivot_strided_batch_crpcr_pow2_shared_kernelILj256ELj64EfEEviiiPKT1_S3_S3_PS1_.num_vgpr, 29
	.set _ZN9rocsparseL51gtsv_nopivot_strided_batch_crpcr_pow2_shared_kernelILj256ELj64EfEEviiiPKT1_S3_S3_PS1_.num_agpr, 0
	.set _ZN9rocsparseL51gtsv_nopivot_strided_batch_crpcr_pow2_shared_kernelILj256ELj64EfEEviiiPKT1_S3_S3_PS1_.numbered_sgpr, 12
	.set _ZN9rocsparseL51gtsv_nopivot_strided_batch_crpcr_pow2_shared_kernelILj256ELj64EfEEviiiPKT1_S3_S3_PS1_.num_named_barrier, 0
	.set _ZN9rocsparseL51gtsv_nopivot_strided_batch_crpcr_pow2_shared_kernelILj256ELj64EfEEviiiPKT1_S3_S3_PS1_.private_seg_size, 0
	.set _ZN9rocsparseL51gtsv_nopivot_strided_batch_crpcr_pow2_shared_kernelILj256ELj64EfEEviiiPKT1_S3_S3_PS1_.uses_vcc, 1
	.set _ZN9rocsparseL51gtsv_nopivot_strided_batch_crpcr_pow2_shared_kernelILj256ELj64EfEEviiiPKT1_S3_S3_PS1_.uses_flat_scratch, 0
	.set _ZN9rocsparseL51gtsv_nopivot_strided_batch_crpcr_pow2_shared_kernelILj256ELj64EfEEviiiPKT1_S3_S3_PS1_.has_dyn_sized_stack, 0
	.set _ZN9rocsparseL51gtsv_nopivot_strided_batch_crpcr_pow2_shared_kernelILj256ELj64EfEEviiiPKT1_S3_S3_PS1_.has_recursion, 0
	.set _ZN9rocsparseL51gtsv_nopivot_strided_batch_crpcr_pow2_shared_kernelILj256ELj64EfEEviiiPKT1_S3_S3_PS1_.has_indirect_call, 0
	.section	.AMDGPU.csdata,"",@progbits
; Kernel info:
; codeLenInByte = 4168
; TotalNumSgprs: 18
; NumVgprs: 29
; NumAgprs: 0
; TotalNumVgprs: 29
; ScratchSize: 0
; MemoryBound: 0
; FloatMode: 240
; IeeeMode: 1
; LDSByteSize: 11520 bytes/workgroup (compile time only)
; SGPRBlocks: 2
; VGPRBlocks: 3
; NumSGPRsForWavesPerEU: 18
; NumVGPRsForWavesPerEU: 29
; AccumOffset: 32
; Occupancy: 8
; WaveLimiterHint : 0
; COMPUTE_PGM_RSRC2:SCRATCH_EN: 0
; COMPUTE_PGM_RSRC2:USER_SGPR: 2
; COMPUTE_PGM_RSRC2:TRAP_HANDLER: 0
; COMPUTE_PGM_RSRC2:TGID_X_EN: 1
; COMPUTE_PGM_RSRC2:TGID_Y_EN: 0
; COMPUTE_PGM_RSRC2:TGID_Z_EN: 0
; COMPUTE_PGM_RSRC2:TIDIG_COMP_CNT: 0
; COMPUTE_PGM_RSRC3_GFX90A:ACCUM_OFFSET: 7
; COMPUTE_PGM_RSRC3_GFX90A:TG_SPLIT: 0
	.section	.text._ZN9rocsparseL44gtsv_nopivot_strided_batch_pcr_shared_kernelILj4EfEEviiiPKT0_S3_S3_PS1_,"axG",@progbits,_ZN9rocsparseL44gtsv_nopivot_strided_batch_pcr_shared_kernelILj4EfEEviiiPKT0_S3_S3_PS1_,comdat
	.globl	_ZN9rocsparseL44gtsv_nopivot_strided_batch_pcr_shared_kernelILj4EfEEviiiPKT0_S3_S3_PS1_ ; -- Begin function _ZN9rocsparseL44gtsv_nopivot_strided_batch_pcr_shared_kernelILj4EfEEviiiPKT0_S3_S3_PS1_
	.p2align	8
	.type	_ZN9rocsparseL44gtsv_nopivot_strided_batch_pcr_shared_kernelILj4EfEEviiiPKT0_S3_S3_PS1_,@function
_ZN9rocsparseL44gtsv_nopivot_strided_batch_pcr_shared_kernelILj4EfEEviiiPKT0_S3_S3_PS1_: ; @_ZN9rocsparseL44gtsv_nopivot_strided_batch_pcr_shared_kernelILj4EfEEviiiPKT0_S3_S3_PS1_
; %bb.0:
	s_load_dword s3, s[0:1], 0x8
	s_load_dword s8, s[0:1], 0x0
	v_mov_b32_e32 v4, 0
	v_mov_b32_e32 v5, 0
	s_waitcnt lgkmcnt(0)
	s_mul_i32 s4, s3, s2
	v_add_u32_e32 v2, s4, v0
	v_cmp_gt_i32_e64 s[2:3], s8, v0
	v_ashrrev_i32_e32 v3, 31, v2
	s_and_saveexec_b64 s[4:5], s[2:3]
	s_cbranch_execz .LBB9_2
; %bb.1:
	s_load_dwordx2 s[6:7], s[0:1], 0x10
	s_waitcnt lgkmcnt(0)
	v_lshl_add_u64 v[6:7], v[2:3], 2, s[6:7]
	global_load_dword v5, v[6:7], off
.LBB9_2:
	s_or_b64 exec, exec, s[4:5]
	v_lshlrev_b32_e32 v1, 2, v0
	s_waitcnt vmcnt(0)
	ds_write_b32 v1, v5
	s_and_saveexec_b64 s[4:5], s[2:3]
	s_cbranch_execz .LBB9_4
; %bb.3:
	s_load_dwordx2 s[6:7], s[0:1], 0x18
	s_waitcnt lgkmcnt(0)
	v_lshl_add_u64 v[4:5], v[2:3], 2, s[6:7]
	global_load_dword v4, v[4:5], off
.LBB9_4:
	s_or_b64 exec, exec, s[4:5]
	s_load_dwordx2 s[4:5], s[0:1], 0x28
	v_mov_b32_e32 v6, 0
	v_mov_b32_e32 v7, 0
	s_waitcnt vmcnt(0)
	ds_write_b32 v1, v4 offset:16
	s_and_saveexec_b64 s[6:7], s[2:3]
	s_cbranch_execz .LBB9_6
; %bb.5:
	s_load_dwordx2 s[0:1], s[0:1], 0x20
	s_waitcnt lgkmcnt(0)
	v_lshl_add_u64 v[4:5], v[2:3], 2, s[0:1]
	global_load_dword v7, v[4:5], off
.LBB9_6:
	s_or_b64 exec, exec, s[6:7]
	v_or_b32_e32 v5, 16, v1
	v_or_b32_e32 v4, 32, v1
	s_waitcnt vmcnt(0)
	ds_write_b32 v1, v7 offset:32
	s_and_saveexec_b64 s[0:1], s[2:3]
	s_cbranch_execz .LBB9_8
; %bb.7:
	s_waitcnt lgkmcnt(0)
	v_lshl_add_u64 v[6:7], v[2:3], 2, s[4:5]
	global_load_dword v6, v[6:7], off
.LBB9_8:
	s_or_b64 exec, exec, s[0:1]
	s_waitcnt vmcnt(0)
	ds_write_b32 v1, v6 offset:64
	s_add_i32 s0, s8, -1
	v_add_u32_e32 v6, 1, v0
	v_min_i32_e32 v6, s0, v6
	v_lshlrev_b32_e32 v12, 2, v6
	s_waitcnt lgkmcnt(0)
	; wave barrier
	ds_read_b32 v14, v4
	ds_read2_b32 v[6:7], v12 offset1:4
	v_sub_u32_e64 v8, v0, 1 clamp
	v_lshlrev_b32_e32 v10, 2, v8
	ds_read_b32 v16, v1
	ds_read_b32 v18, v5
	ds_read2_b32 v[8:9], v10 offset1:4
	ds_read2_b32 v[10:11], v10 offset0:8 offset1:16
	ds_read2_b32 v[12:13], v12 offset0:8 offset1:16
	s_waitcnt lgkmcnt(5)
	v_div_scale_f32 v15, s[0:1], v7, v7, v14
	v_rcp_f32_e32 v17, v15
	s_nop 0
	v_fma_f32 v19, -v15, v17, 1.0
	v_fmac_f32_e32 v17, v19, v17
	v_div_scale_f32 v19, vcc, v14, v7, v14
	v_mul_f32_e32 v20, v19, v17
	v_fma_f32 v21, -v15, v20, v19
	v_fmac_f32_e32 v20, v21, v17
	s_waitcnt lgkmcnt(2)
	v_div_scale_f32 v21, s[0:1], v9, v9, v16
	v_rcp_f32_e32 v22, v21
	v_fma_f32 v15, -v15, v20, v19
	v_div_fmas_f32 v15, v15, v17, v20
	v_div_fixup_f32 v15, v15, v7, v14
	v_fma_f32 v7, -v21, v22, 1.0
	v_fmac_f32_e32 v22, v7, v22
	v_div_scale_f32 v7, vcc, v16, v9, v16
	v_mul_f32_e32 v14, v7, v22
	v_fma_f32 v17, -v21, v14, v7
	v_fmac_f32_e32 v14, v17, v22
	ds_read_b32 v19, v1 offset:64
	v_fma_f32 v7, -v21, v14, v7
	v_div_fmas_f32 v7, v7, v22, v14
	v_div_fixup_f32 v14, v7, v9, v16
	s_waitcnt lgkmcnt(2)
	v_mov_b32_e32 v16, v10
	v_mov_b32_e32 v17, v6
	v_pk_mul_f32 v[6:7], v[14:15], v[16:17]
	v_cmp_gt_u32_e32 vcc, 2, v0
	v_sub_f32_e32 v6, v18, v6
	v_sub_f32_e32 v6, v6, v7
	s_waitcnt lgkmcnt(0)
	v_fma_f32 v7, -v14, v11, v19
	v_fma_f32 v7, -v15, v13, v7
	v_mul_f32_e64 v8, v14, -v8
	v_mul_f32_e64 v9, v15, -v12
	; wave barrier
	ds_write_b32 v5, v6
	ds_write_b32 v1, v7 offset:64
	ds_write_b32 v1, v8
	ds_write_b32 v4, v9
	s_waitcnt lgkmcnt(0)
	; wave barrier
	s_and_saveexec_b64 s[0:1], vcc
	s_cbranch_execz .LBB9_14
; %bb.9:
	v_or_b32_e32 v6, 2, v0
	v_or_b32_e32 v7, 64, v1
	v_cmp_le_i32_e32 vcc, s8, v6
                                        ; implicit-def: $vgpr8
	s_and_saveexec_b64 s[6:7], vcc
	s_xor_b64 s[6:7], exec, s[6:7]
	s_cbranch_execz .LBB9_11
; %bb.10:
	ds_read_b32 v4, v7
	ds_read_b32 v5, v5
	s_waitcnt lgkmcnt(0)
	v_div_scale_f32 v6, s[8:9], v5, v5, v4
	v_rcp_f32_e32 v7, v6
	v_div_scale_f32 v8, vcc, v4, v5, v4
	v_fma_f32 v9, -v6, v7, 1.0
	v_fmac_f32_e32 v7, v9, v7
	v_mul_f32_e32 v9, v8, v7
	v_fma_f32 v10, -v6, v9, v8
	v_fmac_f32_e32 v9, v10, v7
	v_fma_f32 v6, -v6, v9, v8
	v_div_fmas_f32 v6, v6, v7, v9
	v_div_fixup_f32 v8, v6, v5, v4
                                        ; implicit-def: $vgpr5
                                        ; implicit-def: $vgpr4
                                        ; implicit-def: $vgpr7
                                        ; implicit-def: $vgpr6
.LBB9_11:
	s_andn2_saveexec_b64 s[6:7], s[6:7]
	s_cbranch_execz .LBB9_13
; %bb.12:
	ds_read2_b32 v[8:9], v5 offset1:2
	ds_read_b32 v0, v1 offset:8
	ds_read_b32 v5, v4
	s_waitcnt lgkmcnt(2)
	v_mov_b32_e32 v4, v9
	s_waitcnt lgkmcnt(1)
	v_mov_b32_e32 v9, v0
	s_waitcnt lgkmcnt(0)
	v_pk_mul_f32 v[10:11], v[4:5], v[8:9]
	s_nop 0
	v_sub_f32_e32 v0, v10, v11
	v_div_scale_f32 v12, s[8:9], v0, v0, 1.0
	v_rcp_f32_e32 v13, v12
	ds_read2_b32 v[10:11], v7 offset1:2
	v_div_scale_f32 v7, vcc, 1.0, v0, 1.0
	v_fma_f32 v14, -v12, v13, 1.0
	v_fmac_f32_e32 v13, v14, v13
	v_mul_f32_e32 v14, v7, v13
	v_fma_f32 v15, -v12, v14, v7
	v_fmac_f32_e32 v14, v15, v13
	v_fma_f32 v7, -v12, v14, v7
	v_div_fmas_f32 v7, v7, v13, v14
	s_waitcnt lgkmcnt(0)
	v_pk_mul_f32 v[4:5], v[4:5], v[10:11]
	v_div_fixup_f32 v0, v7, v0, 1.0
	v_sub_f32_e32 v4, v4, v5
	v_mul_f32_e32 v4, v0, v4
	ds_write_b32 v1, v4 offset:48
	v_mov_b32_e32 v4, v11
	v_mov_b32_e32 v5, v10
	v_pk_mul_f32 v[4:5], v[8:9], v[4:5]
	s_nop 0
	v_sub_f32_e32 v4, v4, v5
	v_mul_f32_e32 v8, v0, v4
	v_mov_b32_e32 v0, v6
.LBB9_13:
	s_or_b64 exec, exec, s[6:7]
	v_lshlrev_b32_e32 v0, 2, v0
	ds_write_b32 v0, v8 offset:48
.LBB9_14:
	s_or_b64 exec, exec, s[0:1]
	s_waitcnt lgkmcnt(0)
	; wave barrier
	s_and_saveexec_b64 s[0:1], s[2:3]
	s_cbranch_execz .LBB9_16
; %bb.15:
	ds_read_b32 v4, v1 offset:48
	v_lshl_add_u64 v[0:1], v[2:3], 2, s[4:5]
	s_waitcnt lgkmcnt(0)
	global_store_dword v[0:1], v4, off
.LBB9_16:
	s_endpgm
	.section	.rodata,"a",@progbits
	.p2align	6, 0x0
	.amdhsa_kernel _ZN9rocsparseL44gtsv_nopivot_strided_batch_pcr_shared_kernelILj4EfEEviiiPKT0_S3_S3_PS1_
		.amdhsa_group_segment_fixed_size 80
		.amdhsa_private_segment_fixed_size 0
		.amdhsa_kernarg_size 48
		.amdhsa_user_sgpr_count 2
		.amdhsa_user_sgpr_dispatch_ptr 0
		.amdhsa_user_sgpr_queue_ptr 0
		.amdhsa_user_sgpr_kernarg_segment_ptr 1
		.amdhsa_user_sgpr_dispatch_id 0
		.amdhsa_user_sgpr_kernarg_preload_length 0
		.amdhsa_user_sgpr_kernarg_preload_offset 0
		.amdhsa_user_sgpr_private_segment_size 0
		.amdhsa_uses_dynamic_stack 0
		.amdhsa_enable_private_segment 0
		.amdhsa_system_sgpr_workgroup_id_x 1
		.amdhsa_system_sgpr_workgroup_id_y 0
		.amdhsa_system_sgpr_workgroup_id_z 0
		.amdhsa_system_sgpr_workgroup_info 0
		.amdhsa_system_vgpr_workitem_id 0
		.amdhsa_next_free_vgpr 23
		.amdhsa_next_free_sgpr 10
		.amdhsa_accum_offset 24
		.amdhsa_reserve_vcc 1
		.amdhsa_float_round_mode_32 0
		.amdhsa_float_round_mode_16_64 0
		.amdhsa_float_denorm_mode_32 3
		.amdhsa_float_denorm_mode_16_64 3
		.amdhsa_dx10_clamp 1
		.amdhsa_ieee_mode 1
		.amdhsa_fp16_overflow 0
		.amdhsa_tg_split 0
		.amdhsa_exception_fp_ieee_invalid_op 0
		.amdhsa_exception_fp_denorm_src 0
		.amdhsa_exception_fp_ieee_div_zero 0
		.amdhsa_exception_fp_ieee_overflow 0
		.amdhsa_exception_fp_ieee_underflow 0
		.amdhsa_exception_fp_ieee_inexact 0
		.amdhsa_exception_int_div_zero 0
	.end_amdhsa_kernel
	.section	.text._ZN9rocsparseL44gtsv_nopivot_strided_batch_pcr_shared_kernelILj4EfEEviiiPKT0_S3_S3_PS1_,"axG",@progbits,_ZN9rocsparseL44gtsv_nopivot_strided_batch_pcr_shared_kernelILj4EfEEviiiPKT0_S3_S3_PS1_,comdat
.Lfunc_end9:
	.size	_ZN9rocsparseL44gtsv_nopivot_strided_batch_pcr_shared_kernelILj4EfEEviiiPKT0_S3_S3_PS1_, .Lfunc_end9-_ZN9rocsparseL44gtsv_nopivot_strided_batch_pcr_shared_kernelILj4EfEEviiiPKT0_S3_S3_PS1_
                                        ; -- End function
	.set _ZN9rocsparseL44gtsv_nopivot_strided_batch_pcr_shared_kernelILj4EfEEviiiPKT0_S3_S3_PS1_.num_vgpr, 23
	.set _ZN9rocsparseL44gtsv_nopivot_strided_batch_pcr_shared_kernelILj4EfEEviiiPKT0_S3_S3_PS1_.num_agpr, 0
	.set _ZN9rocsparseL44gtsv_nopivot_strided_batch_pcr_shared_kernelILj4EfEEviiiPKT0_S3_S3_PS1_.numbered_sgpr, 10
	.set _ZN9rocsparseL44gtsv_nopivot_strided_batch_pcr_shared_kernelILj4EfEEviiiPKT0_S3_S3_PS1_.num_named_barrier, 0
	.set _ZN9rocsparseL44gtsv_nopivot_strided_batch_pcr_shared_kernelILj4EfEEviiiPKT0_S3_S3_PS1_.private_seg_size, 0
	.set _ZN9rocsparseL44gtsv_nopivot_strided_batch_pcr_shared_kernelILj4EfEEviiiPKT0_S3_S3_PS1_.uses_vcc, 1
	.set _ZN9rocsparseL44gtsv_nopivot_strided_batch_pcr_shared_kernelILj4EfEEviiiPKT0_S3_S3_PS1_.uses_flat_scratch, 0
	.set _ZN9rocsparseL44gtsv_nopivot_strided_batch_pcr_shared_kernelILj4EfEEviiiPKT0_S3_S3_PS1_.has_dyn_sized_stack, 0
	.set _ZN9rocsparseL44gtsv_nopivot_strided_batch_pcr_shared_kernelILj4EfEEviiiPKT0_S3_S3_PS1_.has_recursion, 0
	.set _ZN9rocsparseL44gtsv_nopivot_strided_batch_pcr_shared_kernelILj4EfEEviiiPKT0_S3_S3_PS1_.has_indirect_call, 0
	.section	.AMDGPU.csdata,"",@progbits
; Kernel info:
; codeLenInByte = 1028
; TotalNumSgprs: 16
; NumVgprs: 23
; NumAgprs: 0
; TotalNumVgprs: 23
; ScratchSize: 0
; MemoryBound: 0
; FloatMode: 240
; IeeeMode: 1
; LDSByteSize: 80 bytes/workgroup (compile time only)
; SGPRBlocks: 1
; VGPRBlocks: 2
; NumSGPRsForWavesPerEU: 16
; NumVGPRsForWavesPerEU: 23
; AccumOffset: 24
; Occupancy: 8
; WaveLimiterHint : 0
; COMPUTE_PGM_RSRC2:SCRATCH_EN: 0
; COMPUTE_PGM_RSRC2:USER_SGPR: 2
; COMPUTE_PGM_RSRC2:TRAP_HANDLER: 0
; COMPUTE_PGM_RSRC2:TGID_X_EN: 1
; COMPUTE_PGM_RSRC2:TGID_Y_EN: 0
; COMPUTE_PGM_RSRC2:TGID_Z_EN: 0
; COMPUTE_PGM_RSRC2:TIDIG_COMP_CNT: 0
; COMPUTE_PGM_RSRC3_GFX90A:ACCUM_OFFSET: 5
; COMPUTE_PGM_RSRC3_GFX90A:TG_SPLIT: 0
	.section	.text._ZN9rocsparseL44gtsv_nopivot_strided_batch_pcr_shared_kernelILj8EfEEviiiPKT0_S3_S3_PS1_,"axG",@progbits,_ZN9rocsparseL44gtsv_nopivot_strided_batch_pcr_shared_kernelILj8EfEEviiiPKT0_S3_S3_PS1_,comdat
	.globl	_ZN9rocsparseL44gtsv_nopivot_strided_batch_pcr_shared_kernelILj8EfEEviiiPKT0_S3_S3_PS1_ ; -- Begin function _ZN9rocsparseL44gtsv_nopivot_strided_batch_pcr_shared_kernelILj8EfEEviiiPKT0_S3_S3_PS1_
	.p2align	8
	.type	_ZN9rocsparseL44gtsv_nopivot_strided_batch_pcr_shared_kernelILj8EfEEviiiPKT0_S3_S3_PS1_,@function
_ZN9rocsparseL44gtsv_nopivot_strided_batch_pcr_shared_kernelILj8EfEEviiiPKT0_S3_S3_PS1_: ; @_ZN9rocsparseL44gtsv_nopivot_strided_batch_pcr_shared_kernelILj8EfEEviiiPKT0_S3_S3_PS1_
; %bb.0:
	s_load_dword s3, s[0:1], 0x8
	s_load_dword s8, s[0:1], 0x0
	v_mov_b32_e32 v4, 0
	v_mov_b32_e32 v5, 0
	s_waitcnt lgkmcnt(0)
	s_mul_i32 s4, s3, s2
	v_add_u32_e32 v2, s4, v0
	v_cmp_gt_i32_e64 s[2:3], s8, v0
	v_ashrrev_i32_e32 v3, 31, v2
	s_and_saveexec_b64 s[4:5], s[2:3]
	s_cbranch_execz .LBB10_2
; %bb.1:
	s_load_dwordx2 s[6:7], s[0:1], 0x10
	s_waitcnt lgkmcnt(0)
	v_lshl_add_u64 v[6:7], v[2:3], 2, s[6:7]
	global_load_dword v5, v[6:7], off
.LBB10_2:
	s_or_b64 exec, exec, s[4:5]
	v_lshlrev_b32_e32 v1, 2, v0
	s_waitcnt vmcnt(0)
	ds_write_b32 v1, v5
	s_and_saveexec_b64 s[4:5], s[2:3]
	s_cbranch_execz .LBB10_4
; %bb.3:
	s_load_dwordx2 s[6:7], s[0:1], 0x18
	s_waitcnt lgkmcnt(0)
	v_lshl_add_u64 v[4:5], v[2:3], 2, s[6:7]
	global_load_dword v4, v[4:5], off
.LBB10_4:
	s_or_b64 exec, exec, s[4:5]
	s_load_dwordx2 s[4:5], s[0:1], 0x28
	v_mov_b32_e32 v6, 0
	v_mov_b32_e32 v7, 0
	s_waitcnt vmcnt(0)
	ds_write_b32 v1, v4 offset:32
	s_and_saveexec_b64 s[6:7], s[2:3]
	s_cbranch_execz .LBB10_6
; %bb.5:
	s_load_dwordx2 s[0:1], s[0:1], 0x20
	s_waitcnt lgkmcnt(0)
	v_lshl_add_u64 v[4:5], v[2:3], 2, s[0:1]
	global_load_dword v7, v[4:5], off
.LBB10_6:
	s_or_b64 exec, exec, s[6:7]
	v_or_b32_e32 v5, 32, v1
	v_or_b32_e32 v4, 64, v1
	s_waitcnt vmcnt(0)
	ds_write_b32 v1, v7 offset:64
	s_and_saveexec_b64 s[0:1], s[2:3]
	s_cbranch_execz .LBB10_8
; %bb.7:
	s_waitcnt lgkmcnt(0)
	v_lshl_add_u64 v[6:7], v[2:3], 2, s[4:5]
	global_load_dword v6, v[6:7], off
.LBB10_8:
	s_or_b64 exec, exec, s[0:1]
	s_waitcnt vmcnt(0)
	ds_write_b32 v1, v6 offset:128
	v_sub_u32_e64 v6, v0, 1 clamp
	v_lshlrev_b32_e32 v10, 2, v6
	s_waitcnt lgkmcnt(0)
	; wave barrier
	ds_read2_b32 v[6:7], v10 offset1:8
	ds_read_b32 v11, v1
	ds_read_b32 v14, v4
	ds_read_b32 v15, v5
	ds_read_b32 v16, v1 offset:128
	s_add_i32 s6, s8, -1
	s_waitcnt lgkmcnt(3)
	v_div_scale_f32 v12, s[0:1], v7, v7, v11
	v_rcp_f32_e32 v13, v12
	v_add_u32_e32 v8, 1, v0
	v_min_i32_e32 v8, s6, v8
	v_lshlrev_b32_e32 v19, 2, v8
	v_fma_f32 v9, -v12, v13, 1.0
	v_fmac_f32_e32 v13, v9, v13
	ds_read2_b32 v[8:9], v19 offset1:8
	v_div_scale_f32 v17, vcc, v11, v7, v11
	v_mul_f32_e32 v18, v17, v13
	v_fma_f32 v20, -v12, v18, v17
	v_fmac_f32_e32 v18, v20, v13
	v_fma_f32 v12, -v12, v18, v17
	s_waitcnt lgkmcnt(0)
	v_div_scale_f32 v17, s[0:1], v9, v9, v14
	v_rcp_f32_e32 v20, v17
	v_div_fmas_f32 v12, v12, v13, v18
	v_div_fixup_f32 v7, v12, v7, v11
	v_mul_f32_e64 v6, v7, -v6
	v_fma_f32 v11, -v17, v20, 1.0
	v_fmac_f32_e32 v20, v11, v20
	v_div_scale_f32 v11, vcc, v14, v9, v14
	v_mul_f32_e32 v12, v11, v20
	v_fma_f32 v13, -v17, v12, v11
	v_fmac_f32_e32 v12, v13, v20
	v_fma_f32 v13, -v17, v12, v11
	ds_read2_b32 v[10:11], v10 offset0:16 offset1:32
	v_div_fmas_f32 v17, v13, v20, v12
	ds_read2_b32 v[12:13], v19 offset0:16 offset1:32
	v_div_fixup_f32 v9, v17, v9, v14
	s_waitcnt lgkmcnt(0)
	v_fma_f32 v10, -v7, v10, v15
	v_fma_f32 v8, -v9, v8, v10
	;; [unrolled: 1-line block ×4, first 2 shown]
	v_mul_f32_e64 v7, v9, -v12
	; wave barrier
	ds_write_b32 v5, v8
	ds_write_b32 v1, v10 offset:128
	ds_write_b32 v1, v6
	ds_write_b32 v4, v7
	v_sub_u32_e64 v6, v0, 2 clamp
	v_lshlrev_b32_e32 v10, 2, v6
	s_waitcnt lgkmcnt(0)
	; wave barrier
	ds_read2_b32 v[6:7], v10 offset1:8
	ds_read_b32 v11, v1
	ds_read_b32 v14, v1 offset:128
	v_add_u32_e32 v8, 2, v0
	v_min_i32_e32 v8, s6, v8
	v_lshlrev_b32_e32 v19, 2, v8
	s_waitcnt lgkmcnt(1)
	v_div_scale_f32 v12, s[0:1], v7, v7, v11
	v_rcp_f32_e32 v13, v12
	ds_read_b32 v15, v4
	ds_read_b32 v16, v5
	v_div_scale_f32 v17, vcc, v11, v7, v11
	v_fma_f32 v9, -v12, v13, 1.0
	v_fmac_f32_e32 v13, v9, v13
	ds_read2_b32 v[8:9], v19 offset1:8
	v_mul_f32_e32 v18, v17, v13
	v_fma_f32 v20, -v12, v18, v17
	v_fmac_f32_e32 v18, v20, v13
	v_fma_f32 v12, -v12, v18, v17
	s_waitcnt lgkmcnt(0)
	v_div_scale_f32 v17, s[0:1], v9, v9, v15
	v_rcp_f32_e32 v20, v17
	v_div_fmas_f32 v12, v12, v13, v18
	v_div_fixup_f32 v7, v12, v7, v11
	v_mul_f32_e64 v6, v7, -v6
	v_fma_f32 v11, -v17, v20, 1.0
	v_fmac_f32_e32 v20, v11, v20
	v_div_scale_f32 v11, vcc, v15, v9, v15
	v_mul_f32_e32 v12, v11, v20
	v_fma_f32 v13, -v17, v12, v11
	v_fmac_f32_e32 v12, v13, v20
	v_fma_f32 v13, -v17, v12, v11
	ds_read2_b32 v[10:11], v10 offset0:16 offset1:32
	v_div_fmas_f32 v17, v13, v20, v12
	ds_read2_b32 v[12:13], v19 offset0:16 offset1:32
	v_div_fixup_f32 v9, v17, v9, v15
	v_cmp_gt_u32_e32 vcc, 4, v0
	s_waitcnt lgkmcnt(1)
	v_fma_f32 v10, -v7, v10, v16
	v_fma_f32 v8, -v9, v8, v10
	;; [unrolled: 1-line block ×3, first 2 shown]
	s_waitcnt lgkmcnt(0)
	v_fma_f32 v10, -v9, v13, v10
	v_mul_f32_e64 v7, v9, -v12
	; wave barrier
	ds_write_b32 v5, v8
	ds_write_b32 v1, v10 offset:128
	ds_write_b32 v1, v6
	ds_write_b32 v4, v7
	s_waitcnt lgkmcnt(0)
	; wave barrier
	s_and_saveexec_b64 s[0:1], vcc
	s_cbranch_execz .LBB10_14
; %bb.9:
	v_or_b32_e32 v6, 4, v0
	v_or_b32_e32 v7, 0x80, v1
	v_cmp_le_i32_e32 vcc, s8, v6
                                        ; implicit-def: $vgpr8
	s_and_saveexec_b64 s[6:7], vcc
	s_xor_b64 s[6:7], exec, s[6:7]
	s_cbranch_execz .LBB10_11
; %bb.10:
	ds_read_b32 v4, v7
	ds_read_b32 v5, v5
	s_waitcnt lgkmcnt(0)
	v_div_scale_f32 v6, s[8:9], v5, v5, v4
	v_rcp_f32_e32 v7, v6
	v_div_scale_f32 v8, vcc, v4, v5, v4
	v_fma_f32 v9, -v6, v7, 1.0
	v_fmac_f32_e32 v7, v9, v7
	v_mul_f32_e32 v9, v8, v7
	v_fma_f32 v10, -v6, v9, v8
	v_fmac_f32_e32 v9, v10, v7
	v_fma_f32 v6, -v6, v9, v8
	v_div_fmas_f32 v6, v6, v7, v9
	v_div_fixup_f32 v8, v6, v5, v4
                                        ; implicit-def: $vgpr5
                                        ; implicit-def: $vgpr4
                                        ; implicit-def: $vgpr7
                                        ; implicit-def: $vgpr6
.LBB10_11:
	s_andn2_saveexec_b64 s[6:7], s[6:7]
	s_cbranch_execz .LBB10_13
; %bb.12:
	ds_read2_b32 v[8:9], v5 offset1:4
	ds_read_b32 v0, v1 offset:16
	ds_read_b32 v5, v4
	s_waitcnt lgkmcnt(2)
	v_mov_b32_e32 v4, v9
	s_waitcnt lgkmcnt(1)
	v_mov_b32_e32 v9, v0
	s_waitcnt lgkmcnt(0)
	v_pk_mul_f32 v[10:11], v[4:5], v[8:9]
	s_nop 0
	v_sub_f32_e32 v0, v10, v11
	v_div_scale_f32 v12, s[8:9], v0, v0, 1.0
	v_rcp_f32_e32 v13, v12
	ds_read2_b32 v[10:11], v7 offset1:4
	v_div_scale_f32 v7, vcc, 1.0, v0, 1.0
	v_fma_f32 v14, -v12, v13, 1.0
	v_fmac_f32_e32 v13, v14, v13
	v_mul_f32_e32 v14, v7, v13
	v_fma_f32 v15, -v12, v14, v7
	v_fmac_f32_e32 v14, v15, v13
	v_fma_f32 v7, -v12, v14, v7
	v_div_fmas_f32 v7, v7, v13, v14
	s_waitcnt lgkmcnt(0)
	v_pk_mul_f32 v[4:5], v[4:5], v[10:11]
	v_div_fixup_f32 v0, v7, v0, 1.0
	v_sub_f32_e32 v4, v4, v5
	v_mul_f32_e32 v4, v0, v4
	ds_write_b32 v1, v4 offset:96
	v_mov_b32_e32 v4, v11
	v_mov_b32_e32 v5, v10
	v_pk_mul_f32 v[4:5], v[8:9], v[4:5]
	s_nop 0
	v_sub_f32_e32 v4, v4, v5
	v_mul_f32_e32 v8, v0, v4
	v_mov_b32_e32 v0, v6
.LBB10_13:
	s_or_b64 exec, exec, s[6:7]
	v_lshlrev_b32_e32 v0, 2, v0
	ds_write_b32 v0, v8 offset:96
.LBB10_14:
	s_or_b64 exec, exec, s[0:1]
	s_waitcnt lgkmcnt(0)
	; wave barrier
	s_and_saveexec_b64 s[0:1], s[2:3]
	s_cbranch_execz .LBB10_16
; %bb.15:
	ds_read_b32 v4, v1 offset:96
	v_lshl_add_u64 v[0:1], v[2:3], 2, s[4:5]
	s_waitcnt lgkmcnt(0)
	global_store_dword v[0:1], v4, off
.LBB10_16:
	s_endpgm
	.section	.rodata,"a",@progbits
	.p2align	6, 0x0
	.amdhsa_kernel _ZN9rocsparseL44gtsv_nopivot_strided_batch_pcr_shared_kernelILj8EfEEviiiPKT0_S3_S3_PS1_
		.amdhsa_group_segment_fixed_size 160
		.amdhsa_private_segment_fixed_size 0
		.amdhsa_kernarg_size 48
		.amdhsa_user_sgpr_count 2
		.amdhsa_user_sgpr_dispatch_ptr 0
		.amdhsa_user_sgpr_queue_ptr 0
		.amdhsa_user_sgpr_kernarg_segment_ptr 1
		.amdhsa_user_sgpr_dispatch_id 0
		.amdhsa_user_sgpr_kernarg_preload_length 0
		.amdhsa_user_sgpr_kernarg_preload_offset 0
		.amdhsa_user_sgpr_private_segment_size 0
		.amdhsa_uses_dynamic_stack 0
		.amdhsa_enable_private_segment 0
		.amdhsa_system_sgpr_workgroup_id_x 1
		.amdhsa_system_sgpr_workgroup_id_y 0
		.amdhsa_system_sgpr_workgroup_id_z 0
		.amdhsa_system_sgpr_workgroup_info 0
		.amdhsa_system_vgpr_workitem_id 0
		.amdhsa_next_free_vgpr 21
		.amdhsa_next_free_sgpr 10
		.amdhsa_accum_offset 24
		.amdhsa_reserve_vcc 1
		.amdhsa_float_round_mode_32 0
		.amdhsa_float_round_mode_16_64 0
		.amdhsa_float_denorm_mode_32 3
		.amdhsa_float_denorm_mode_16_64 3
		.amdhsa_dx10_clamp 1
		.amdhsa_ieee_mode 1
		.amdhsa_fp16_overflow 0
		.amdhsa_tg_split 0
		.amdhsa_exception_fp_ieee_invalid_op 0
		.amdhsa_exception_fp_denorm_src 0
		.amdhsa_exception_fp_ieee_div_zero 0
		.amdhsa_exception_fp_ieee_overflow 0
		.amdhsa_exception_fp_ieee_underflow 0
		.amdhsa_exception_fp_ieee_inexact 0
		.amdhsa_exception_int_div_zero 0
	.end_amdhsa_kernel
	.section	.text._ZN9rocsparseL44gtsv_nopivot_strided_batch_pcr_shared_kernelILj8EfEEviiiPKT0_S3_S3_PS1_,"axG",@progbits,_ZN9rocsparseL44gtsv_nopivot_strided_batch_pcr_shared_kernelILj8EfEEviiiPKT0_S3_S3_PS1_,comdat
.Lfunc_end10:
	.size	_ZN9rocsparseL44gtsv_nopivot_strided_batch_pcr_shared_kernelILj8EfEEviiiPKT0_S3_S3_PS1_, .Lfunc_end10-_ZN9rocsparseL44gtsv_nopivot_strided_batch_pcr_shared_kernelILj8EfEEviiiPKT0_S3_S3_PS1_
                                        ; -- End function
	.set _ZN9rocsparseL44gtsv_nopivot_strided_batch_pcr_shared_kernelILj8EfEEviiiPKT0_S3_S3_PS1_.num_vgpr, 21
	.set _ZN9rocsparseL44gtsv_nopivot_strided_batch_pcr_shared_kernelILj8EfEEviiiPKT0_S3_S3_PS1_.num_agpr, 0
	.set _ZN9rocsparseL44gtsv_nopivot_strided_batch_pcr_shared_kernelILj8EfEEviiiPKT0_S3_S3_PS1_.numbered_sgpr, 10
	.set _ZN9rocsparseL44gtsv_nopivot_strided_batch_pcr_shared_kernelILj8EfEEviiiPKT0_S3_S3_PS1_.num_named_barrier, 0
	.set _ZN9rocsparseL44gtsv_nopivot_strided_batch_pcr_shared_kernelILj8EfEEviiiPKT0_S3_S3_PS1_.private_seg_size, 0
	.set _ZN9rocsparseL44gtsv_nopivot_strided_batch_pcr_shared_kernelILj8EfEEviiiPKT0_S3_S3_PS1_.uses_vcc, 1
	.set _ZN9rocsparseL44gtsv_nopivot_strided_batch_pcr_shared_kernelILj8EfEEviiiPKT0_S3_S3_PS1_.uses_flat_scratch, 0
	.set _ZN9rocsparseL44gtsv_nopivot_strided_batch_pcr_shared_kernelILj8EfEEviiiPKT0_S3_S3_PS1_.has_dyn_sized_stack, 0
	.set _ZN9rocsparseL44gtsv_nopivot_strided_batch_pcr_shared_kernelILj8EfEEviiiPKT0_S3_S3_PS1_.has_recursion, 0
	.set _ZN9rocsparseL44gtsv_nopivot_strided_batch_pcr_shared_kernelILj8EfEEviiiPKT0_S3_S3_PS1_.has_indirect_call, 0
	.section	.AMDGPU.csdata,"",@progbits
; Kernel info:
; codeLenInByte = 1348
; TotalNumSgprs: 16
; NumVgprs: 21
; NumAgprs: 0
; TotalNumVgprs: 21
; ScratchSize: 0
; MemoryBound: 0
; FloatMode: 240
; IeeeMode: 1
; LDSByteSize: 160 bytes/workgroup (compile time only)
; SGPRBlocks: 1
; VGPRBlocks: 2
; NumSGPRsForWavesPerEU: 16
; NumVGPRsForWavesPerEU: 21
; AccumOffset: 24
; Occupancy: 8
; WaveLimiterHint : 0
; COMPUTE_PGM_RSRC2:SCRATCH_EN: 0
; COMPUTE_PGM_RSRC2:USER_SGPR: 2
; COMPUTE_PGM_RSRC2:TRAP_HANDLER: 0
; COMPUTE_PGM_RSRC2:TGID_X_EN: 1
; COMPUTE_PGM_RSRC2:TGID_Y_EN: 0
; COMPUTE_PGM_RSRC2:TGID_Z_EN: 0
; COMPUTE_PGM_RSRC2:TIDIG_COMP_CNT: 0
; COMPUTE_PGM_RSRC3_GFX90A:ACCUM_OFFSET: 5
; COMPUTE_PGM_RSRC3_GFX90A:TG_SPLIT: 0
	.section	.text._ZN9rocsparseL44gtsv_nopivot_strided_batch_pcr_shared_kernelILj16EfEEviiiPKT0_S3_S3_PS1_,"axG",@progbits,_ZN9rocsparseL44gtsv_nopivot_strided_batch_pcr_shared_kernelILj16EfEEviiiPKT0_S3_S3_PS1_,comdat
	.globl	_ZN9rocsparseL44gtsv_nopivot_strided_batch_pcr_shared_kernelILj16EfEEviiiPKT0_S3_S3_PS1_ ; -- Begin function _ZN9rocsparseL44gtsv_nopivot_strided_batch_pcr_shared_kernelILj16EfEEviiiPKT0_S3_S3_PS1_
	.p2align	8
	.type	_ZN9rocsparseL44gtsv_nopivot_strided_batch_pcr_shared_kernelILj16EfEEviiiPKT0_S3_S3_PS1_,@function
_ZN9rocsparseL44gtsv_nopivot_strided_batch_pcr_shared_kernelILj16EfEEviiiPKT0_S3_S3_PS1_: ; @_ZN9rocsparseL44gtsv_nopivot_strided_batch_pcr_shared_kernelILj16EfEEviiiPKT0_S3_S3_PS1_
; %bb.0:
	s_load_dword s3, s[0:1], 0x8
	s_load_dword s8, s[0:1], 0x0
	v_mov_b32_e32 v4, 0
	v_mov_b32_e32 v5, 0
	s_waitcnt lgkmcnt(0)
	s_mul_i32 s4, s3, s2
	v_add_u32_e32 v2, s4, v0
	v_cmp_gt_i32_e64 s[2:3], s8, v0
	v_ashrrev_i32_e32 v3, 31, v2
	s_and_saveexec_b64 s[4:5], s[2:3]
	s_cbranch_execz .LBB11_2
; %bb.1:
	s_load_dwordx2 s[6:7], s[0:1], 0x10
	s_waitcnt lgkmcnt(0)
	v_lshl_add_u64 v[6:7], v[2:3], 2, s[6:7]
	global_load_dword v5, v[6:7], off
.LBB11_2:
	s_or_b64 exec, exec, s[4:5]
	v_lshlrev_b32_e32 v1, 2, v0
	s_waitcnt vmcnt(0)
	ds_write_b32 v1, v5
	s_and_saveexec_b64 s[4:5], s[2:3]
	s_cbranch_execz .LBB11_4
; %bb.3:
	s_load_dwordx2 s[6:7], s[0:1], 0x18
	s_waitcnt lgkmcnt(0)
	v_lshl_add_u64 v[4:5], v[2:3], 2, s[6:7]
	global_load_dword v4, v[4:5], off
.LBB11_4:
	s_or_b64 exec, exec, s[4:5]
	s_load_dwordx2 s[4:5], s[0:1], 0x28
	v_mov_b32_e32 v6, 0
	v_mov_b32_e32 v7, 0
	s_waitcnt vmcnt(0)
	ds_write_b32 v1, v4 offset:64
	s_and_saveexec_b64 s[6:7], s[2:3]
	s_cbranch_execz .LBB11_6
; %bb.5:
	s_load_dwordx2 s[0:1], s[0:1], 0x20
	s_waitcnt lgkmcnt(0)
	v_lshl_add_u64 v[4:5], v[2:3], 2, s[0:1]
	global_load_dword v7, v[4:5], off
.LBB11_6:
	s_or_b64 exec, exec, s[6:7]
	v_or_b32_e32 v5, 64, v1
	v_or_b32_e32 v4, 0x80, v1
	s_waitcnt vmcnt(0)
	ds_write_b32 v1, v7 offset:128
	s_and_saveexec_b64 s[0:1], s[2:3]
	s_cbranch_execz .LBB11_8
; %bb.7:
	s_waitcnt lgkmcnt(0)
	v_lshl_add_u64 v[6:7], v[2:3], 2, s[4:5]
	global_load_dword v6, v[6:7], off
.LBB11_8:
	s_or_b64 exec, exec, s[0:1]
	s_waitcnt vmcnt(0)
	ds_write_b32 v1, v6 offset:256
	v_sub_u32_e64 v6, v0, 1 clamp
	v_lshlrev_b32_e32 v10, 2, v6
	s_waitcnt lgkmcnt(0)
	; wave barrier
	ds_read2_b32 v[6:7], v10 offset1:16
	ds_read_b32 v11, v1
	ds_read_b32 v14, v4
	;; [unrolled: 1-line block ×3, first 2 shown]
	ds_read_b32 v16, v1 offset:256
	s_add_i32 s6, s8, -1
	s_waitcnt lgkmcnt(3)
	v_div_scale_f32 v12, s[0:1], v7, v7, v11
	v_rcp_f32_e32 v13, v12
	v_add_u32_e32 v8, 1, v0
	v_min_i32_e32 v8, s6, v8
	v_lshlrev_b32_e32 v19, 2, v8
	v_fma_f32 v9, -v12, v13, 1.0
	v_fmac_f32_e32 v13, v9, v13
	ds_read2_b32 v[8:9], v19 offset1:16
	v_div_scale_f32 v17, vcc, v11, v7, v11
	v_mul_f32_e32 v18, v17, v13
	v_fma_f32 v20, -v12, v18, v17
	v_fmac_f32_e32 v18, v20, v13
	v_fma_f32 v12, -v12, v18, v17
	s_waitcnt lgkmcnt(0)
	v_div_scale_f32 v17, s[0:1], v9, v9, v14
	v_rcp_f32_e32 v20, v17
	v_div_fmas_f32 v12, v12, v13, v18
	v_div_fixup_f32 v7, v12, v7, v11
	v_mul_f32_e64 v6, v7, -v6
	v_fma_f32 v11, -v17, v20, 1.0
	v_fmac_f32_e32 v20, v11, v20
	v_div_scale_f32 v11, vcc, v14, v9, v14
	v_mul_f32_e32 v12, v11, v20
	v_fma_f32 v13, -v17, v12, v11
	v_fmac_f32_e32 v12, v13, v20
	v_fma_f32 v13, -v17, v12, v11
	ds_read2_b32 v[10:11], v10 offset0:32 offset1:64
	v_div_fmas_f32 v17, v13, v20, v12
	ds_read2_b32 v[12:13], v19 offset0:32 offset1:64
	v_div_fixup_f32 v9, v17, v9, v14
	s_waitcnt lgkmcnt(0)
	v_fma_f32 v10, -v7, v10, v15
	v_fma_f32 v8, -v9, v8, v10
	;; [unrolled: 1-line block ×4, first 2 shown]
	v_mul_f32_e64 v7, v9, -v12
	; wave barrier
	ds_write_b32 v5, v8
	ds_write_b32 v1, v10 offset:256
	ds_write_b32 v1, v6
	ds_write_b32 v4, v7
	v_sub_u32_e64 v6, v0, 2 clamp
	v_lshlrev_b32_e32 v10, 2, v6
	s_waitcnt lgkmcnt(0)
	; wave barrier
	ds_read2_b32 v[6:7], v10 offset1:16
	ds_read_b32 v11, v1
	ds_read_b32 v14, v1 offset:256
	v_add_u32_e32 v8, 2, v0
	v_min_i32_e32 v8, s6, v8
	v_lshlrev_b32_e32 v19, 2, v8
	s_waitcnt lgkmcnt(1)
	v_div_scale_f32 v12, s[0:1], v7, v7, v11
	v_rcp_f32_e32 v13, v12
	ds_read_b32 v15, v4
	ds_read_b32 v16, v5
	v_div_scale_f32 v17, vcc, v11, v7, v11
	v_fma_f32 v9, -v12, v13, 1.0
	v_fmac_f32_e32 v13, v9, v13
	ds_read2_b32 v[8:9], v19 offset1:16
	v_mul_f32_e32 v18, v17, v13
	v_fma_f32 v20, -v12, v18, v17
	v_fmac_f32_e32 v18, v20, v13
	v_fma_f32 v12, -v12, v18, v17
	s_waitcnt lgkmcnt(0)
	v_div_scale_f32 v17, s[0:1], v9, v9, v15
	v_rcp_f32_e32 v20, v17
	v_div_fmas_f32 v12, v12, v13, v18
	v_div_fixup_f32 v7, v12, v7, v11
	v_mul_f32_e64 v6, v7, -v6
	v_fma_f32 v11, -v17, v20, 1.0
	v_fmac_f32_e32 v20, v11, v20
	v_div_scale_f32 v11, vcc, v15, v9, v15
	v_mul_f32_e32 v12, v11, v20
	v_fma_f32 v13, -v17, v12, v11
	v_fmac_f32_e32 v12, v13, v20
	v_fma_f32 v13, -v17, v12, v11
	ds_read2_b32 v[10:11], v10 offset0:32 offset1:64
	v_div_fmas_f32 v17, v13, v20, v12
	ds_read2_b32 v[12:13], v19 offset0:32 offset1:64
	v_div_fixup_f32 v9, v17, v9, v15
	s_waitcnt lgkmcnt(0)
	v_fma_f32 v10, -v7, v10, v16
	v_fma_f32 v8, -v9, v8, v10
	;; [unrolled: 1-line block ×4, first 2 shown]
	v_mul_f32_e64 v7, v9, -v12
	; wave barrier
	ds_write_b32 v5, v8
	ds_write_b32 v1, v10 offset:256
	ds_write_b32 v1, v6
	ds_write_b32 v4, v7
	v_sub_u32_e64 v6, v0, 4 clamp
	v_lshlrev_b32_e32 v10, 2, v6
	s_waitcnt lgkmcnt(0)
	; wave barrier
	ds_read2_b32 v[6:7], v10 offset1:16
	ds_read_b32 v11, v1
	ds_read_b32 v14, v1 offset:256
	v_add_u32_e32 v8, 4, v0
	v_min_i32_e32 v8, s6, v8
	v_lshlrev_b32_e32 v19, 2, v8
	s_waitcnt lgkmcnt(1)
	v_div_scale_f32 v12, s[0:1], v7, v7, v11
	v_rcp_f32_e32 v13, v12
	ds_read_b32 v15, v4
	ds_read_b32 v16, v5
	v_div_scale_f32 v17, vcc, v11, v7, v11
	v_fma_f32 v9, -v12, v13, 1.0
	v_fmac_f32_e32 v13, v9, v13
	ds_read2_b32 v[8:9], v19 offset1:16
	v_mul_f32_e32 v18, v17, v13
	v_fma_f32 v20, -v12, v18, v17
	v_fmac_f32_e32 v18, v20, v13
	v_fma_f32 v12, -v12, v18, v17
	s_waitcnt lgkmcnt(0)
	v_div_scale_f32 v17, s[0:1], v9, v9, v15
	v_rcp_f32_e32 v20, v17
	v_div_fmas_f32 v12, v12, v13, v18
	v_div_fixup_f32 v7, v12, v7, v11
	v_mul_f32_e64 v6, v7, -v6
	v_fma_f32 v11, -v17, v20, 1.0
	v_fmac_f32_e32 v20, v11, v20
	v_div_scale_f32 v11, vcc, v15, v9, v15
	v_mul_f32_e32 v12, v11, v20
	v_fma_f32 v13, -v17, v12, v11
	v_fmac_f32_e32 v12, v13, v20
	v_fma_f32 v13, -v17, v12, v11
	ds_read2_b32 v[10:11], v10 offset0:32 offset1:64
	v_div_fmas_f32 v17, v13, v20, v12
	ds_read2_b32 v[12:13], v19 offset0:32 offset1:64
	v_div_fixup_f32 v9, v17, v9, v15
	v_cmp_gt_u32_e32 vcc, 8, v0
	s_waitcnt lgkmcnt(1)
	v_fma_f32 v10, -v7, v10, v16
	v_fma_f32 v8, -v9, v8, v10
	v_fma_f32 v10, -v7, v11, v14
	s_waitcnt lgkmcnt(0)
	v_fma_f32 v10, -v9, v13, v10
	v_mul_f32_e64 v7, v9, -v12
	; wave barrier
	ds_write_b32 v5, v8
	ds_write_b32 v1, v10 offset:256
	ds_write_b32 v1, v6
	ds_write_b32 v4, v7
	s_waitcnt lgkmcnt(0)
	; wave barrier
	s_and_saveexec_b64 s[0:1], vcc
	s_cbranch_execz .LBB11_14
; %bb.9:
	v_or_b32_e32 v6, 8, v0
	v_or_b32_e32 v7, 0x100, v1
	v_cmp_le_i32_e32 vcc, s8, v6
                                        ; implicit-def: $vgpr8
	s_and_saveexec_b64 s[6:7], vcc
	s_xor_b64 s[6:7], exec, s[6:7]
	s_cbranch_execz .LBB11_11
; %bb.10:
	ds_read_b32 v4, v7
	ds_read_b32 v5, v5
	s_waitcnt lgkmcnt(0)
	v_div_scale_f32 v6, s[8:9], v5, v5, v4
	v_rcp_f32_e32 v7, v6
	v_div_scale_f32 v8, vcc, v4, v5, v4
	v_fma_f32 v9, -v6, v7, 1.0
	v_fmac_f32_e32 v7, v9, v7
	v_mul_f32_e32 v9, v8, v7
	v_fma_f32 v10, -v6, v9, v8
	v_fmac_f32_e32 v9, v10, v7
	v_fma_f32 v6, -v6, v9, v8
	v_div_fmas_f32 v6, v6, v7, v9
	v_div_fixup_f32 v8, v6, v5, v4
                                        ; implicit-def: $vgpr5
                                        ; implicit-def: $vgpr4
                                        ; implicit-def: $vgpr7
                                        ; implicit-def: $vgpr6
.LBB11_11:
	s_andn2_saveexec_b64 s[6:7], s[6:7]
	s_cbranch_execz .LBB11_13
; %bb.12:
	ds_read2_b32 v[8:9], v5 offset1:8
	ds_read_b32 v0, v1 offset:32
	ds_read_b32 v5, v4
	s_waitcnt lgkmcnt(2)
	v_mov_b32_e32 v4, v9
	s_waitcnt lgkmcnt(1)
	v_mov_b32_e32 v9, v0
	s_waitcnt lgkmcnt(0)
	v_pk_mul_f32 v[10:11], v[4:5], v[8:9]
	s_nop 0
	v_sub_f32_e32 v0, v10, v11
	v_div_scale_f32 v12, s[8:9], v0, v0, 1.0
	v_rcp_f32_e32 v13, v12
	ds_read2_b32 v[10:11], v7 offset1:8
	v_div_scale_f32 v7, vcc, 1.0, v0, 1.0
	v_fma_f32 v14, -v12, v13, 1.0
	v_fmac_f32_e32 v13, v14, v13
	v_mul_f32_e32 v14, v7, v13
	v_fma_f32 v15, -v12, v14, v7
	v_fmac_f32_e32 v14, v15, v13
	v_fma_f32 v7, -v12, v14, v7
	v_div_fmas_f32 v7, v7, v13, v14
	s_waitcnt lgkmcnt(0)
	v_pk_mul_f32 v[4:5], v[4:5], v[10:11]
	v_div_fixup_f32 v0, v7, v0, 1.0
	v_sub_f32_e32 v4, v4, v5
	v_mul_f32_e32 v4, v0, v4
	ds_write_b32 v1, v4 offset:192
	v_mov_b32_e32 v4, v11
	v_mov_b32_e32 v5, v10
	v_pk_mul_f32 v[4:5], v[8:9], v[4:5]
	s_nop 0
	v_sub_f32_e32 v4, v4, v5
	v_mul_f32_e32 v8, v0, v4
	v_mov_b32_e32 v0, v6
.LBB11_13:
	s_or_b64 exec, exec, s[6:7]
	v_lshlrev_b32_e32 v0, 2, v0
	ds_write_b32 v0, v8 offset:192
.LBB11_14:
	s_or_b64 exec, exec, s[0:1]
	s_waitcnt lgkmcnt(0)
	; wave barrier
	s_and_saveexec_b64 s[0:1], s[2:3]
	s_cbranch_execz .LBB11_16
; %bb.15:
	ds_read_b32 v4, v1 offset:192
	v_lshl_add_u64 v[0:1], v[2:3], 2, s[4:5]
	s_waitcnt lgkmcnt(0)
	global_store_dword v[0:1], v4, off
.LBB11_16:
	s_endpgm
	.section	.rodata,"a",@progbits
	.p2align	6, 0x0
	.amdhsa_kernel _ZN9rocsparseL44gtsv_nopivot_strided_batch_pcr_shared_kernelILj16EfEEviiiPKT0_S3_S3_PS1_
		.amdhsa_group_segment_fixed_size 320
		.amdhsa_private_segment_fixed_size 0
		.amdhsa_kernarg_size 48
		.amdhsa_user_sgpr_count 2
		.amdhsa_user_sgpr_dispatch_ptr 0
		.amdhsa_user_sgpr_queue_ptr 0
		.amdhsa_user_sgpr_kernarg_segment_ptr 1
		.amdhsa_user_sgpr_dispatch_id 0
		.amdhsa_user_sgpr_kernarg_preload_length 0
		.amdhsa_user_sgpr_kernarg_preload_offset 0
		.amdhsa_user_sgpr_private_segment_size 0
		.amdhsa_uses_dynamic_stack 0
		.amdhsa_enable_private_segment 0
		.amdhsa_system_sgpr_workgroup_id_x 1
		.amdhsa_system_sgpr_workgroup_id_y 0
		.amdhsa_system_sgpr_workgroup_id_z 0
		.amdhsa_system_sgpr_workgroup_info 0
		.amdhsa_system_vgpr_workitem_id 0
		.amdhsa_next_free_vgpr 21
		.amdhsa_next_free_sgpr 10
		.amdhsa_accum_offset 24
		.amdhsa_reserve_vcc 1
		.amdhsa_float_round_mode_32 0
		.amdhsa_float_round_mode_16_64 0
		.amdhsa_float_denorm_mode_32 3
		.amdhsa_float_denorm_mode_16_64 3
		.amdhsa_dx10_clamp 1
		.amdhsa_ieee_mode 1
		.amdhsa_fp16_overflow 0
		.amdhsa_tg_split 0
		.amdhsa_exception_fp_ieee_invalid_op 0
		.amdhsa_exception_fp_denorm_src 0
		.amdhsa_exception_fp_ieee_div_zero 0
		.amdhsa_exception_fp_ieee_overflow 0
		.amdhsa_exception_fp_ieee_underflow 0
		.amdhsa_exception_fp_ieee_inexact 0
		.amdhsa_exception_int_div_zero 0
	.end_amdhsa_kernel
	.section	.text._ZN9rocsparseL44gtsv_nopivot_strided_batch_pcr_shared_kernelILj16EfEEviiiPKT0_S3_S3_PS1_,"axG",@progbits,_ZN9rocsparseL44gtsv_nopivot_strided_batch_pcr_shared_kernelILj16EfEEviiiPKT0_S3_S3_PS1_,comdat
.Lfunc_end11:
	.size	_ZN9rocsparseL44gtsv_nopivot_strided_batch_pcr_shared_kernelILj16EfEEviiiPKT0_S3_S3_PS1_, .Lfunc_end11-_ZN9rocsparseL44gtsv_nopivot_strided_batch_pcr_shared_kernelILj16EfEEviiiPKT0_S3_S3_PS1_
                                        ; -- End function
	.set _ZN9rocsparseL44gtsv_nopivot_strided_batch_pcr_shared_kernelILj16EfEEviiiPKT0_S3_S3_PS1_.num_vgpr, 21
	.set _ZN9rocsparseL44gtsv_nopivot_strided_batch_pcr_shared_kernelILj16EfEEviiiPKT0_S3_S3_PS1_.num_agpr, 0
	.set _ZN9rocsparseL44gtsv_nopivot_strided_batch_pcr_shared_kernelILj16EfEEviiiPKT0_S3_S3_PS1_.numbered_sgpr, 10
	.set _ZN9rocsparseL44gtsv_nopivot_strided_batch_pcr_shared_kernelILj16EfEEviiiPKT0_S3_S3_PS1_.num_named_barrier, 0
	.set _ZN9rocsparseL44gtsv_nopivot_strided_batch_pcr_shared_kernelILj16EfEEviiiPKT0_S3_S3_PS1_.private_seg_size, 0
	.set _ZN9rocsparseL44gtsv_nopivot_strided_batch_pcr_shared_kernelILj16EfEEviiiPKT0_S3_S3_PS1_.uses_vcc, 1
	.set _ZN9rocsparseL44gtsv_nopivot_strided_batch_pcr_shared_kernelILj16EfEEviiiPKT0_S3_S3_PS1_.uses_flat_scratch, 0
	.set _ZN9rocsparseL44gtsv_nopivot_strided_batch_pcr_shared_kernelILj16EfEEviiiPKT0_S3_S3_PS1_.has_dyn_sized_stack, 0
	.set _ZN9rocsparseL44gtsv_nopivot_strided_batch_pcr_shared_kernelILj16EfEEviiiPKT0_S3_S3_PS1_.has_recursion, 0
	.set _ZN9rocsparseL44gtsv_nopivot_strided_batch_pcr_shared_kernelILj16EfEEviiiPKT0_S3_S3_PS1_.has_indirect_call, 0
	.section	.AMDGPU.csdata,"",@progbits
; Kernel info:
; codeLenInByte = 1680
; TotalNumSgprs: 16
; NumVgprs: 21
; NumAgprs: 0
; TotalNumVgprs: 21
; ScratchSize: 0
; MemoryBound: 0
; FloatMode: 240
; IeeeMode: 1
; LDSByteSize: 320 bytes/workgroup (compile time only)
; SGPRBlocks: 1
; VGPRBlocks: 2
; NumSGPRsForWavesPerEU: 16
; NumVGPRsForWavesPerEU: 21
; AccumOffset: 24
; Occupancy: 8
; WaveLimiterHint : 0
; COMPUTE_PGM_RSRC2:SCRATCH_EN: 0
; COMPUTE_PGM_RSRC2:USER_SGPR: 2
; COMPUTE_PGM_RSRC2:TRAP_HANDLER: 0
; COMPUTE_PGM_RSRC2:TGID_X_EN: 1
; COMPUTE_PGM_RSRC2:TGID_Y_EN: 0
; COMPUTE_PGM_RSRC2:TGID_Z_EN: 0
; COMPUTE_PGM_RSRC2:TIDIG_COMP_CNT: 0
; COMPUTE_PGM_RSRC3_GFX90A:ACCUM_OFFSET: 5
; COMPUTE_PGM_RSRC3_GFX90A:TG_SPLIT: 0
	.section	.text._ZN9rocsparseL44gtsv_nopivot_strided_batch_pcr_shared_kernelILj32EfEEviiiPKT0_S3_S3_PS1_,"axG",@progbits,_ZN9rocsparseL44gtsv_nopivot_strided_batch_pcr_shared_kernelILj32EfEEviiiPKT0_S3_S3_PS1_,comdat
	.globl	_ZN9rocsparseL44gtsv_nopivot_strided_batch_pcr_shared_kernelILj32EfEEviiiPKT0_S3_S3_PS1_ ; -- Begin function _ZN9rocsparseL44gtsv_nopivot_strided_batch_pcr_shared_kernelILj32EfEEviiiPKT0_S3_S3_PS1_
	.p2align	8
	.type	_ZN9rocsparseL44gtsv_nopivot_strided_batch_pcr_shared_kernelILj32EfEEviiiPKT0_S3_S3_PS1_,@function
_ZN9rocsparseL44gtsv_nopivot_strided_batch_pcr_shared_kernelILj32EfEEviiiPKT0_S3_S3_PS1_: ; @_ZN9rocsparseL44gtsv_nopivot_strided_batch_pcr_shared_kernelILj32EfEEviiiPKT0_S3_S3_PS1_
; %bb.0:
	s_load_dword s3, s[0:1], 0x8
	s_load_dword s8, s[0:1], 0x0
	v_mov_b32_e32 v4, 0
	v_mov_b32_e32 v5, 0
	s_waitcnt lgkmcnt(0)
	s_mul_i32 s4, s3, s2
	v_add_u32_e32 v2, s4, v0
	v_cmp_gt_i32_e64 s[2:3], s8, v0
	v_ashrrev_i32_e32 v3, 31, v2
	s_and_saveexec_b64 s[4:5], s[2:3]
	s_cbranch_execz .LBB12_2
; %bb.1:
	s_load_dwordx2 s[6:7], s[0:1], 0x10
	s_waitcnt lgkmcnt(0)
	v_lshl_add_u64 v[6:7], v[2:3], 2, s[6:7]
	global_load_dword v5, v[6:7], off
.LBB12_2:
	s_or_b64 exec, exec, s[4:5]
	v_lshlrev_b32_e32 v1, 2, v0
	s_waitcnt vmcnt(0)
	ds_write_b32 v1, v5
	s_and_saveexec_b64 s[4:5], s[2:3]
	s_cbranch_execz .LBB12_4
; %bb.3:
	s_load_dwordx2 s[6:7], s[0:1], 0x18
	s_waitcnt lgkmcnt(0)
	v_lshl_add_u64 v[4:5], v[2:3], 2, s[6:7]
	global_load_dword v4, v[4:5], off
.LBB12_4:
	s_or_b64 exec, exec, s[4:5]
	s_load_dwordx2 s[4:5], s[0:1], 0x28
	v_mov_b32_e32 v6, 0
	v_mov_b32_e32 v7, 0
	s_waitcnt vmcnt(0)
	ds_write_b32 v1, v4 offset:128
	s_and_saveexec_b64 s[6:7], s[2:3]
	s_cbranch_execz .LBB12_6
; %bb.5:
	s_load_dwordx2 s[0:1], s[0:1], 0x20
	s_waitcnt lgkmcnt(0)
	v_lshl_add_u64 v[4:5], v[2:3], 2, s[0:1]
	global_load_dword v7, v[4:5], off
.LBB12_6:
	s_or_b64 exec, exec, s[6:7]
	v_or_b32_e32 v5, 0x80, v1
	v_or_b32_e32 v4, 0x100, v1
	s_waitcnt vmcnt(0)
	ds_write_b32 v1, v7 offset:256
	s_and_saveexec_b64 s[0:1], s[2:3]
	s_cbranch_execz .LBB12_8
; %bb.7:
	s_waitcnt lgkmcnt(0)
	v_lshl_add_u64 v[6:7], v[2:3], 2, s[4:5]
	global_load_dword v6, v[6:7], off
.LBB12_8:
	s_or_b64 exec, exec, s[0:1]
	s_waitcnt vmcnt(0)
	ds_write_b32 v1, v6 offset:512
	v_sub_u32_e64 v6, v0, 1 clamp
	v_lshlrev_b32_e32 v10, 2, v6
	s_waitcnt lgkmcnt(0)
	; wave barrier
	ds_read2_b32 v[6:7], v10 offset1:32
	ds_read_b32 v11, v1
	ds_read_b32 v14, v1 offset:512
	v_add_u32_e32 v8, 1, v0
	ds_read_b32 v18, v4
	s_waitcnt lgkmcnt(2)
	v_div_scale_f32 v12, s[0:1], v7, v7, v11
	v_rcp_f32_e32 v13, v12
	s_add_i32 s0, s8, -1
	v_min_i32_e32 v8, s0, v8
	v_lshlrev_b32_e32 v19, 2, v8
	v_fma_f32 v9, -v12, v13, 1.0
	v_fmac_f32_e32 v13, v9, v13
	ds_read2_b32 v[8:9], v19 offset1:32
	v_div_scale_f32 v15, vcc, v11, v7, v11
	v_mul_f32_e32 v16, v15, v13
	v_fma_f32 v17, -v12, v16, v15
	v_fmac_f32_e32 v16, v17, v13
	v_fma_f32 v12, -v12, v16, v15
	ds_read_b32 v15, v5
	s_waitcnt lgkmcnt(1)
	v_div_scale_f32 v17, s[6:7], v9, v9, v18
	v_rcp_f32_e32 v20, v17
	v_div_fmas_f32 v12, v12, v13, v16
	v_div_fixup_f32 v7, v12, v7, v11
	v_mul_f32_e64 v6, v7, -v6
	v_fma_f32 v11, -v17, v20, 1.0
	v_fmac_f32_e32 v20, v11, v20
	v_div_scale_f32 v11, vcc, v18, v9, v18
	v_mul_f32_e32 v12, v11, v20
	v_fma_f32 v13, -v17, v12, v11
	v_fmac_f32_e32 v12, v13, v20
	v_fma_f32 v13, -v17, v12, v11
	ds_read2st64_b32 v[10:11], v10 offset0:1 offset1:2
	v_div_fmas_f32 v16, v13, v20, v12
	ds_read2st64_b32 v[12:13], v19 offset0:1 offset1:2
	v_div_fixup_f32 v9, v16, v9, v18
	s_waitcnt lgkmcnt(0)
	v_fma_f32 v10, -v7, v10, v15
	v_fma_f32 v8, -v9, v8, v10
	v_fma_f32 v10, -v7, v11, v14
	v_fma_f32 v10, -v9, v13, v10
	v_mul_f32_e64 v7, v9, -v12
	; wave barrier
	ds_write_b32 v5, v8
	ds_write_b32 v1, v10 offset:512
	ds_write_b32 v1, v6
	ds_write_b32 v4, v7
	v_sub_u32_e64 v6, v0, 2 clamp
	v_lshlrev_b32_e32 v10, 2, v6
	s_waitcnt lgkmcnt(0)
	; wave barrier
	ds_read2_b32 v[6:7], v10 offset1:32
	ds_read_b32 v11, v1
	ds_read_b32 v14, v1 offset:512
	v_add_u32_e32 v8, 2, v0
	v_min_i32_e32 v8, s0, v8
	v_lshlrev_b32_e32 v19, 2, v8
	s_waitcnt lgkmcnt(1)
	v_div_scale_f32 v12, s[6:7], v7, v7, v11
	v_rcp_f32_e32 v13, v12
	ds_read_b32 v18, v4
	v_div_scale_f32 v15, vcc, v11, v7, v11
	v_fma_f32 v9, -v12, v13, 1.0
	v_fmac_f32_e32 v13, v9, v13
	ds_read2_b32 v[8:9], v19 offset1:32
	v_mul_f32_e32 v16, v15, v13
	v_fma_f32 v17, -v12, v16, v15
	v_fmac_f32_e32 v16, v17, v13
	v_fma_f32 v12, -v12, v16, v15
	ds_read_b32 v15, v5
	s_waitcnt lgkmcnt(1)
	v_div_scale_f32 v17, s[6:7], v9, v9, v18
	v_rcp_f32_e32 v20, v17
	v_div_fmas_f32 v12, v12, v13, v16
	v_div_fixup_f32 v7, v12, v7, v11
	v_mul_f32_e64 v6, v7, -v6
	v_fma_f32 v11, -v17, v20, 1.0
	v_fmac_f32_e32 v20, v11, v20
	v_div_scale_f32 v11, vcc, v18, v9, v18
	v_mul_f32_e32 v12, v11, v20
	v_fma_f32 v13, -v17, v12, v11
	v_fmac_f32_e32 v12, v13, v20
	v_fma_f32 v13, -v17, v12, v11
	ds_read2st64_b32 v[10:11], v10 offset0:1 offset1:2
	v_div_fmas_f32 v16, v13, v20, v12
	ds_read2st64_b32 v[12:13], v19 offset0:1 offset1:2
	v_div_fixup_f32 v9, v16, v9, v18
	s_waitcnt lgkmcnt(0)
	v_fma_f32 v10, -v7, v10, v15
	v_fma_f32 v8, -v9, v8, v10
	v_fma_f32 v10, -v7, v11, v14
	v_fma_f32 v10, -v9, v13, v10
	v_mul_f32_e64 v7, v9, -v12
	; wave barrier
	ds_write_b32 v5, v8
	ds_write_b32 v1, v10 offset:512
	ds_write_b32 v1, v6
	ds_write_b32 v4, v7
	v_sub_u32_e64 v6, v0, 4 clamp
	v_lshlrev_b32_e32 v10, 2, v6
	s_waitcnt lgkmcnt(0)
	; wave barrier
	ds_read2_b32 v[6:7], v10 offset1:32
	ds_read_b32 v11, v1
	ds_read_b32 v14, v1 offset:512
	v_add_u32_e32 v8, 4, v0
	v_min_i32_e32 v8, s0, v8
	v_lshlrev_b32_e32 v19, 2, v8
	s_waitcnt lgkmcnt(1)
	v_div_scale_f32 v12, s[6:7], v7, v7, v11
	v_rcp_f32_e32 v13, v12
	ds_read_b32 v18, v4
	v_div_scale_f32 v15, vcc, v11, v7, v11
	v_fma_f32 v9, -v12, v13, 1.0
	v_fmac_f32_e32 v13, v9, v13
	ds_read2_b32 v[8:9], v19 offset1:32
	;; [unrolled: 51-line block ×3, first 2 shown]
	v_mul_f32_e32 v16, v15, v13
	v_fma_f32 v17, -v12, v16, v15
	v_fmac_f32_e32 v16, v17, v13
	v_fma_f32 v12, -v12, v16, v15
	ds_read_b32 v15, v5
	s_waitcnt lgkmcnt(1)
	v_div_scale_f32 v17, s[0:1], v9, v9, v18
	v_rcp_f32_e32 v20, v17
	v_div_fmas_f32 v12, v12, v13, v16
	v_div_fixup_f32 v7, v12, v7, v11
	v_mul_f32_e64 v6, v7, -v6
	v_fma_f32 v11, -v17, v20, 1.0
	v_fmac_f32_e32 v20, v11, v20
	v_div_scale_f32 v11, vcc, v18, v9, v18
	v_mul_f32_e32 v12, v11, v20
	v_fma_f32 v13, -v17, v12, v11
	v_fmac_f32_e32 v12, v13, v20
	v_fma_f32 v13, -v17, v12, v11
	ds_read2st64_b32 v[10:11], v10 offset0:1 offset1:2
	v_div_fmas_f32 v16, v13, v20, v12
	ds_read2st64_b32 v[12:13], v19 offset0:1 offset1:2
	v_div_fixup_f32 v9, v16, v9, v18
	v_cmp_gt_u32_e32 vcc, 16, v0
	s_waitcnt lgkmcnt(1)
	v_fma_f32 v10, -v7, v10, v15
	v_fma_f32 v8, -v9, v8, v10
	;; [unrolled: 1-line block ×3, first 2 shown]
	s_waitcnt lgkmcnt(0)
	v_fma_f32 v10, -v9, v13, v10
	v_mul_f32_e64 v7, v9, -v12
	; wave barrier
	ds_write_b32 v5, v8
	ds_write_b32 v1, v10 offset:512
	ds_write_b32 v1, v6
	ds_write_b32 v4, v7
	s_waitcnt lgkmcnt(0)
	; wave barrier
	s_and_saveexec_b64 s[0:1], vcc
	s_cbranch_execz .LBB12_14
; %bb.9:
	v_or_b32_e32 v6, 16, v0
	v_or_b32_e32 v7, 0x200, v1
	v_cmp_le_i32_e32 vcc, s8, v6
                                        ; implicit-def: $vgpr8
	s_and_saveexec_b64 s[6:7], vcc
	s_xor_b64 s[6:7], exec, s[6:7]
	s_cbranch_execz .LBB12_11
; %bb.10:
	ds_read_b32 v4, v7
	ds_read_b32 v5, v5
	s_waitcnt lgkmcnt(0)
	v_div_scale_f32 v6, s[8:9], v5, v5, v4
	v_rcp_f32_e32 v7, v6
	v_div_scale_f32 v8, vcc, v4, v5, v4
	v_fma_f32 v9, -v6, v7, 1.0
	v_fmac_f32_e32 v7, v9, v7
	v_mul_f32_e32 v9, v8, v7
	v_fma_f32 v10, -v6, v9, v8
	v_fmac_f32_e32 v9, v10, v7
	v_fma_f32 v6, -v6, v9, v8
	v_div_fmas_f32 v6, v6, v7, v9
	v_div_fixup_f32 v8, v6, v5, v4
                                        ; implicit-def: $vgpr5
                                        ; implicit-def: $vgpr4
                                        ; implicit-def: $vgpr7
                                        ; implicit-def: $vgpr6
.LBB12_11:
	s_andn2_saveexec_b64 s[6:7], s[6:7]
	s_cbranch_execz .LBB12_13
; %bb.12:
	ds_read2_b32 v[8:9], v5 offset1:16
	ds_read_b32 v0, v1 offset:64
	ds_read_b32 v5, v4
	s_waitcnt lgkmcnt(2)
	v_mov_b32_e32 v4, v9
	s_waitcnt lgkmcnt(1)
	v_mov_b32_e32 v9, v0
	s_waitcnt lgkmcnt(0)
	v_pk_mul_f32 v[10:11], v[4:5], v[8:9]
	s_nop 0
	v_sub_f32_e32 v0, v10, v11
	v_div_scale_f32 v12, s[8:9], v0, v0, 1.0
	v_rcp_f32_e32 v13, v12
	ds_read2_b32 v[10:11], v7 offset1:16
	v_div_scale_f32 v7, vcc, 1.0, v0, 1.0
	v_fma_f32 v14, -v12, v13, 1.0
	v_fmac_f32_e32 v13, v14, v13
	v_mul_f32_e32 v14, v7, v13
	v_fma_f32 v15, -v12, v14, v7
	v_fmac_f32_e32 v14, v15, v13
	v_fma_f32 v7, -v12, v14, v7
	v_div_fmas_f32 v7, v7, v13, v14
	s_waitcnt lgkmcnt(0)
	v_pk_mul_f32 v[4:5], v[4:5], v[10:11]
	v_div_fixup_f32 v0, v7, v0, 1.0
	v_sub_f32_e32 v4, v4, v5
	v_mul_f32_e32 v4, v0, v4
	ds_write_b32 v1, v4 offset:384
	v_mov_b32_e32 v4, v11
	v_mov_b32_e32 v5, v10
	v_pk_mul_f32 v[4:5], v[8:9], v[4:5]
	s_nop 0
	v_sub_f32_e32 v4, v4, v5
	v_mul_f32_e32 v8, v0, v4
	v_mov_b32_e32 v0, v6
.LBB12_13:
	s_or_b64 exec, exec, s[6:7]
	v_lshlrev_b32_e32 v0, 2, v0
	ds_write_b32 v0, v8 offset:384
.LBB12_14:
	s_or_b64 exec, exec, s[0:1]
	s_waitcnt lgkmcnt(0)
	; wave barrier
	s_and_saveexec_b64 s[0:1], s[2:3]
	s_cbranch_execz .LBB12_16
; %bb.15:
	ds_read_b32 v4, v1 offset:384
	v_lshl_add_u64 v[0:1], v[2:3], 2, s[4:5]
	s_waitcnt lgkmcnt(0)
	global_store_dword v[0:1], v4, off
.LBB12_16:
	s_endpgm
	.section	.rodata,"a",@progbits
	.p2align	6, 0x0
	.amdhsa_kernel _ZN9rocsparseL44gtsv_nopivot_strided_batch_pcr_shared_kernelILj32EfEEviiiPKT0_S3_S3_PS1_
		.amdhsa_group_segment_fixed_size 640
		.amdhsa_private_segment_fixed_size 0
		.amdhsa_kernarg_size 48
		.amdhsa_user_sgpr_count 2
		.amdhsa_user_sgpr_dispatch_ptr 0
		.amdhsa_user_sgpr_queue_ptr 0
		.amdhsa_user_sgpr_kernarg_segment_ptr 1
		.amdhsa_user_sgpr_dispatch_id 0
		.amdhsa_user_sgpr_kernarg_preload_length 0
		.amdhsa_user_sgpr_kernarg_preload_offset 0
		.amdhsa_user_sgpr_private_segment_size 0
		.amdhsa_uses_dynamic_stack 0
		.amdhsa_enable_private_segment 0
		.amdhsa_system_sgpr_workgroup_id_x 1
		.amdhsa_system_sgpr_workgroup_id_y 0
		.amdhsa_system_sgpr_workgroup_id_z 0
		.amdhsa_system_sgpr_workgroup_info 0
		.amdhsa_system_vgpr_workitem_id 0
		.amdhsa_next_free_vgpr 21
		.amdhsa_next_free_sgpr 10
		.amdhsa_accum_offset 24
		.amdhsa_reserve_vcc 1
		.amdhsa_float_round_mode_32 0
		.amdhsa_float_round_mode_16_64 0
		.amdhsa_float_denorm_mode_32 3
		.amdhsa_float_denorm_mode_16_64 3
		.amdhsa_dx10_clamp 1
		.amdhsa_ieee_mode 1
		.amdhsa_fp16_overflow 0
		.amdhsa_tg_split 0
		.amdhsa_exception_fp_ieee_invalid_op 0
		.amdhsa_exception_fp_denorm_src 0
		.amdhsa_exception_fp_ieee_div_zero 0
		.amdhsa_exception_fp_ieee_overflow 0
		.amdhsa_exception_fp_ieee_underflow 0
		.amdhsa_exception_fp_ieee_inexact 0
		.amdhsa_exception_int_div_zero 0
	.end_amdhsa_kernel
	.section	.text._ZN9rocsparseL44gtsv_nopivot_strided_batch_pcr_shared_kernelILj32EfEEviiiPKT0_S3_S3_PS1_,"axG",@progbits,_ZN9rocsparseL44gtsv_nopivot_strided_batch_pcr_shared_kernelILj32EfEEviiiPKT0_S3_S3_PS1_,comdat
.Lfunc_end12:
	.size	_ZN9rocsparseL44gtsv_nopivot_strided_batch_pcr_shared_kernelILj32EfEEviiiPKT0_S3_S3_PS1_, .Lfunc_end12-_ZN9rocsparseL44gtsv_nopivot_strided_batch_pcr_shared_kernelILj32EfEEviiiPKT0_S3_S3_PS1_
                                        ; -- End function
	.set _ZN9rocsparseL44gtsv_nopivot_strided_batch_pcr_shared_kernelILj32EfEEviiiPKT0_S3_S3_PS1_.num_vgpr, 21
	.set _ZN9rocsparseL44gtsv_nopivot_strided_batch_pcr_shared_kernelILj32EfEEviiiPKT0_S3_S3_PS1_.num_agpr, 0
	.set _ZN9rocsparseL44gtsv_nopivot_strided_batch_pcr_shared_kernelILj32EfEEviiiPKT0_S3_S3_PS1_.numbered_sgpr, 10
	.set _ZN9rocsparseL44gtsv_nopivot_strided_batch_pcr_shared_kernelILj32EfEEviiiPKT0_S3_S3_PS1_.num_named_barrier, 0
	.set _ZN9rocsparseL44gtsv_nopivot_strided_batch_pcr_shared_kernelILj32EfEEviiiPKT0_S3_S3_PS1_.private_seg_size, 0
	.set _ZN9rocsparseL44gtsv_nopivot_strided_batch_pcr_shared_kernelILj32EfEEviiiPKT0_S3_S3_PS1_.uses_vcc, 1
	.set _ZN9rocsparseL44gtsv_nopivot_strided_batch_pcr_shared_kernelILj32EfEEviiiPKT0_S3_S3_PS1_.uses_flat_scratch, 0
	.set _ZN9rocsparseL44gtsv_nopivot_strided_batch_pcr_shared_kernelILj32EfEEviiiPKT0_S3_S3_PS1_.has_dyn_sized_stack, 0
	.set _ZN9rocsparseL44gtsv_nopivot_strided_batch_pcr_shared_kernelILj32EfEEviiiPKT0_S3_S3_PS1_.has_recursion, 0
	.set _ZN9rocsparseL44gtsv_nopivot_strided_batch_pcr_shared_kernelILj32EfEEviiiPKT0_S3_S3_PS1_.has_indirect_call, 0
	.section	.AMDGPU.csdata,"",@progbits
; Kernel info:
; codeLenInByte = 2012
; TotalNumSgprs: 16
; NumVgprs: 21
; NumAgprs: 0
; TotalNumVgprs: 21
; ScratchSize: 0
; MemoryBound: 0
; FloatMode: 240
; IeeeMode: 1
; LDSByteSize: 640 bytes/workgroup (compile time only)
; SGPRBlocks: 1
; VGPRBlocks: 2
; NumSGPRsForWavesPerEU: 16
; NumVGPRsForWavesPerEU: 21
; AccumOffset: 24
; Occupancy: 8
; WaveLimiterHint : 0
; COMPUTE_PGM_RSRC2:SCRATCH_EN: 0
; COMPUTE_PGM_RSRC2:USER_SGPR: 2
; COMPUTE_PGM_RSRC2:TRAP_HANDLER: 0
; COMPUTE_PGM_RSRC2:TGID_X_EN: 1
; COMPUTE_PGM_RSRC2:TGID_Y_EN: 0
; COMPUTE_PGM_RSRC2:TGID_Z_EN: 0
; COMPUTE_PGM_RSRC2:TIDIG_COMP_CNT: 0
; COMPUTE_PGM_RSRC3_GFX90A:ACCUM_OFFSET: 5
; COMPUTE_PGM_RSRC3_GFX90A:TG_SPLIT: 0
	.section	.text._ZN9rocsparseL44gtsv_nopivot_strided_batch_pcr_shared_kernelILj64EfEEviiiPKT0_S3_S3_PS1_,"axG",@progbits,_ZN9rocsparseL44gtsv_nopivot_strided_batch_pcr_shared_kernelILj64EfEEviiiPKT0_S3_S3_PS1_,comdat
	.globl	_ZN9rocsparseL44gtsv_nopivot_strided_batch_pcr_shared_kernelILj64EfEEviiiPKT0_S3_S3_PS1_ ; -- Begin function _ZN9rocsparseL44gtsv_nopivot_strided_batch_pcr_shared_kernelILj64EfEEviiiPKT0_S3_S3_PS1_
	.p2align	8
	.type	_ZN9rocsparseL44gtsv_nopivot_strided_batch_pcr_shared_kernelILj64EfEEviiiPKT0_S3_S3_PS1_,@function
_ZN9rocsparseL44gtsv_nopivot_strided_batch_pcr_shared_kernelILj64EfEEviiiPKT0_S3_S3_PS1_: ; @_ZN9rocsparseL44gtsv_nopivot_strided_batch_pcr_shared_kernelILj64EfEEviiiPKT0_S3_S3_PS1_
; %bb.0:
	s_load_dword s3, s[0:1], 0x8
	s_load_dword s8, s[0:1], 0x0
	v_mov_b32_e32 v4, 0
	v_mov_b32_e32 v5, 0
	s_waitcnt lgkmcnt(0)
	s_mul_i32 s4, s3, s2
	v_add_u32_e32 v2, s4, v0
	v_cmp_gt_i32_e64 s[2:3], s8, v0
	v_ashrrev_i32_e32 v3, 31, v2
	s_and_saveexec_b64 s[4:5], s[2:3]
	s_cbranch_execz .LBB13_2
; %bb.1:
	s_load_dwordx2 s[6:7], s[0:1], 0x10
	s_waitcnt lgkmcnt(0)
	v_lshl_add_u64 v[6:7], v[2:3], 2, s[6:7]
	global_load_dword v5, v[6:7], off
.LBB13_2:
	s_or_b64 exec, exec, s[4:5]
	v_lshlrev_b32_e32 v1, 2, v0
	s_waitcnt vmcnt(0)
	ds_write_b32 v1, v5
	s_and_saveexec_b64 s[4:5], s[2:3]
	s_cbranch_execz .LBB13_4
; %bb.3:
	s_load_dwordx2 s[6:7], s[0:1], 0x18
	s_waitcnt lgkmcnt(0)
	v_lshl_add_u64 v[4:5], v[2:3], 2, s[6:7]
	global_load_dword v4, v[4:5], off
.LBB13_4:
	s_or_b64 exec, exec, s[4:5]
	s_load_dwordx2 s[4:5], s[0:1], 0x28
	v_mov_b32_e32 v6, 0
	v_mov_b32_e32 v7, 0
	s_waitcnt vmcnt(0)
	ds_write_b32 v1, v4 offset:256
	s_and_saveexec_b64 s[6:7], s[2:3]
	s_cbranch_execz .LBB13_6
; %bb.5:
	s_load_dwordx2 s[0:1], s[0:1], 0x20
	s_waitcnt lgkmcnt(0)
	v_lshl_add_u64 v[4:5], v[2:3], 2, s[0:1]
	global_load_dword v7, v[4:5], off
.LBB13_6:
	s_or_b64 exec, exec, s[6:7]
	v_or_b32_e32 v5, 0x100, v1
	v_or_b32_e32 v4, 0x200, v1
	s_waitcnt vmcnt(0)
	ds_write_b32 v1, v7 offset:512
	s_and_saveexec_b64 s[0:1], s[2:3]
	s_cbranch_execz .LBB13_8
; %bb.7:
	s_waitcnt lgkmcnt(0)
	v_lshl_add_u64 v[6:7], v[2:3], 2, s[4:5]
	global_load_dword v6, v[6:7], off
.LBB13_8:
	s_or_b64 exec, exec, s[0:1]
	s_waitcnt vmcnt(0)
	ds_write_b32 v1, v6 offset:1024
	v_sub_u32_e64 v6, v0, 1 clamp
	v_lshlrev_b32_e32 v10, 2, v6
	s_waitcnt lgkmcnt(0)
	; wave barrier
	ds_read2st64_b32 v[6:7], v10 offset1:1
	ds_read_b32 v11, v1
	ds_read_b32 v14, v1 offset:1024
	v_add_u32_e32 v8, 1, v0
	ds_read_b32 v18, v4
	s_waitcnt lgkmcnt(2)
	v_div_scale_f32 v12, s[0:1], v7, v7, v11
	v_rcp_f32_e32 v13, v12
	s_add_i32 s0, s8, -1
	v_min_i32_e32 v8, s0, v8
	v_lshlrev_b32_e32 v19, 2, v8
	v_fma_f32 v9, -v12, v13, 1.0
	v_fmac_f32_e32 v13, v9, v13
	ds_read2st64_b32 v[8:9], v19 offset1:1
	v_div_scale_f32 v15, vcc, v11, v7, v11
	v_mul_f32_e32 v16, v15, v13
	v_fma_f32 v17, -v12, v16, v15
	v_fmac_f32_e32 v16, v17, v13
	v_fma_f32 v12, -v12, v16, v15
	ds_read_b32 v15, v5
	s_waitcnt lgkmcnt(1)
	v_div_scale_f32 v17, s[6:7], v9, v9, v18
	v_rcp_f32_e32 v20, v17
	v_div_fmas_f32 v12, v12, v13, v16
	v_div_fixup_f32 v7, v12, v7, v11
	v_mul_f32_e64 v6, v7, -v6
	v_fma_f32 v11, -v17, v20, 1.0
	v_fmac_f32_e32 v20, v11, v20
	v_div_scale_f32 v11, vcc, v18, v9, v18
	v_mul_f32_e32 v12, v11, v20
	v_fma_f32 v13, -v17, v12, v11
	v_fmac_f32_e32 v12, v13, v20
	v_fma_f32 v13, -v17, v12, v11
	ds_read2st64_b32 v[10:11], v10 offset0:2 offset1:4
	v_div_fmas_f32 v16, v13, v20, v12
	ds_read2st64_b32 v[12:13], v19 offset0:2 offset1:4
	v_div_fixup_f32 v9, v16, v9, v18
	s_waitcnt lgkmcnt(0)
	v_fma_f32 v10, -v7, v10, v15
	v_fma_f32 v8, -v9, v8, v10
	v_fma_f32 v10, -v7, v11, v14
	v_fma_f32 v10, -v9, v13, v10
	v_mul_f32_e64 v7, v9, -v12
	; wave barrier
	ds_write_b32 v5, v8
	ds_write_b32 v1, v10 offset:1024
	ds_write_b32 v1, v6
	ds_write_b32 v4, v7
	v_sub_u32_e64 v6, v0, 2 clamp
	v_lshlrev_b32_e32 v10, 2, v6
	s_waitcnt lgkmcnt(0)
	; wave barrier
	ds_read2st64_b32 v[6:7], v10 offset1:1
	ds_read_b32 v11, v1
	ds_read_b32 v14, v1 offset:1024
	v_add_u32_e32 v8, 2, v0
	v_min_i32_e32 v8, s0, v8
	v_lshlrev_b32_e32 v19, 2, v8
	s_waitcnt lgkmcnt(1)
	v_div_scale_f32 v12, s[6:7], v7, v7, v11
	v_rcp_f32_e32 v13, v12
	ds_read_b32 v18, v4
	v_div_scale_f32 v15, vcc, v11, v7, v11
	v_fma_f32 v9, -v12, v13, 1.0
	v_fmac_f32_e32 v13, v9, v13
	ds_read2st64_b32 v[8:9], v19 offset1:1
	v_mul_f32_e32 v16, v15, v13
	v_fma_f32 v17, -v12, v16, v15
	v_fmac_f32_e32 v16, v17, v13
	v_fma_f32 v12, -v12, v16, v15
	ds_read_b32 v15, v5
	s_waitcnt lgkmcnt(1)
	v_div_scale_f32 v17, s[6:7], v9, v9, v18
	v_rcp_f32_e32 v20, v17
	v_div_fmas_f32 v12, v12, v13, v16
	v_div_fixup_f32 v7, v12, v7, v11
	v_mul_f32_e64 v6, v7, -v6
	v_fma_f32 v11, -v17, v20, 1.0
	v_fmac_f32_e32 v20, v11, v20
	v_div_scale_f32 v11, vcc, v18, v9, v18
	v_mul_f32_e32 v12, v11, v20
	v_fma_f32 v13, -v17, v12, v11
	v_fmac_f32_e32 v12, v13, v20
	v_fma_f32 v13, -v17, v12, v11
	ds_read2st64_b32 v[10:11], v10 offset0:2 offset1:4
	v_div_fmas_f32 v16, v13, v20, v12
	ds_read2st64_b32 v[12:13], v19 offset0:2 offset1:4
	v_div_fixup_f32 v9, v16, v9, v18
	s_waitcnt lgkmcnt(0)
	v_fma_f32 v10, -v7, v10, v15
	v_fma_f32 v8, -v9, v8, v10
	v_fma_f32 v10, -v7, v11, v14
	v_fma_f32 v10, -v9, v13, v10
	v_mul_f32_e64 v7, v9, -v12
	; wave barrier
	ds_write_b32 v5, v8
	ds_write_b32 v1, v10 offset:1024
	ds_write_b32 v1, v6
	ds_write_b32 v4, v7
	v_sub_u32_e64 v6, v0, 4 clamp
	v_lshlrev_b32_e32 v10, 2, v6
	s_waitcnt lgkmcnt(0)
	; wave barrier
	ds_read2st64_b32 v[6:7], v10 offset1:1
	ds_read_b32 v11, v1
	ds_read_b32 v14, v1 offset:1024
	v_add_u32_e32 v8, 4, v0
	v_min_i32_e32 v8, s0, v8
	v_lshlrev_b32_e32 v19, 2, v8
	s_waitcnt lgkmcnt(1)
	v_div_scale_f32 v12, s[6:7], v7, v7, v11
	v_rcp_f32_e32 v13, v12
	ds_read_b32 v18, v4
	v_div_scale_f32 v15, vcc, v11, v7, v11
	v_fma_f32 v9, -v12, v13, 1.0
	v_fmac_f32_e32 v13, v9, v13
	ds_read2st64_b32 v[8:9], v19 offset1:1
	;; [unrolled: 51-line block ×4, first 2 shown]
	v_mul_f32_e32 v16, v15, v13
	v_fma_f32 v17, -v12, v16, v15
	v_fmac_f32_e32 v16, v17, v13
	v_fma_f32 v12, -v12, v16, v15
	ds_read_b32 v15, v5
	s_waitcnt lgkmcnt(1)
	v_div_scale_f32 v17, s[0:1], v9, v9, v18
	v_rcp_f32_e32 v20, v17
	v_div_fmas_f32 v12, v12, v13, v16
	v_div_fixup_f32 v7, v12, v7, v11
	v_mul_f32_e64 v6, v7, -v6
	v_fma_f32 v11, -v17, v20, 1.0
	v_fmac_f32_e32 v20, v11, v20
	v_div_scale_f32 v11, vcc, v18, v9, v18
	v_mul_f32_e32 v12, v11, v20
	v_fma_f32 v13, -v17, v12, v11
	v_fmac_f32_e32 v12, v13, v20
	v_fma_f32 v13, -v17, v12, v11
	ds_read2st64_b32 v[10:11], v10 offset0:2 offset1:4
	v_div_fmas_f32 v16, v13, v20, v12
	ds_read2st64_b32 v[12:13], v19 offset0:2 offset1:4
	v_div_fixup_f32 v9, v16, v9, v18
	v_cmp_gt_u32_e32 vcc, 32, v0
	s_waitcnt lgkmcnt(1)
	v_fma_f32 v10, -v7, v10, v15
	v_fma_f32 v8, -v9, v8, v10
	;; [unrolled: 1-line block ×3, first 2 shown]
	s_waitcnt lgkmcnt(0)
	v_fma_f32 v10, -v9, v13, v10
	v_mul_f32_e64 v7, v9, -v12
	; wave barrier
	ds_write_b32 v5, v8
	ds_write_b32 v1, v10 offset:1024
	ds_write_b32 v1, v6
	ds_write_b32 v4, v7
	s_waitcnt lgkmcnt(0)
	; wave barrier
	s_and_saveexec_b64 s[0:1], vcc
	s_cbranch_execz .LBB13_14
; %bb.9:
	v_or_b32_e32 v6, 32, v0
	v_or_b32_e32 v7, 0x400, v1
	v_cmp_le_i32_e32 vcc, s8, v6
                                        ; implicit-def: $vgpr8
	s_and_saveexec_b64 s[6:7], vcc
	s_xor_b64 s[6:7], exec, s[6:7]
	s_cbranch_execz .LBB13_11
; %bb.10:
	ds_read_b32 v4, v7
	ds_read_b32 v5, v5
	s_waitcnt lgkmcnt(0)
	v_div_scale_f32 v6, s[8:9], v5, v5, v4
	v_rcp_f32_e32 v7, v6
	v_div_scale_f32 v8, vcc, v4, v5, v4
	v_fma_f32 v9, -v6, v7, 1.0
	v_fmac_f32_e32 v7, v9, v7
	v_mul_f32_e32 v9, v8, v7
	v_fma_f32 v10, -v6, v9, v8
	v_fmac_f32_e32 v9, v10, v7
	v_fma_f32 v6, -v6, v9, v8
	v_div_fmas_f32 v6, v6, v7, v9
	v_div_fixup_f32 v8, v6, v5, v4
                                        ; implicit-def: $vgpr5
                                        ; implicit-def: $vgpr4
                                        ; implicit-def: $vgpr7
                                        ; implicit-def: $vgpr6
.LBB13_11:
	s_andn2_saveexec_b64 s[6:7], s[6:7]
	s_cbranch_execz .LBB13_13
; %bb.12:
	ds_read2_b32 v[8:9], v5 offset1:32
	ds_read_b32 v0, v1 offset:128
	ds_read_b32 v5, v4
	s_waitcnt lgkmcnt(2)
	v_mov_b32_e32 v4, v9
	s_waitcnt lgkmcnt(1)
	v_mov_b32_e32 v9, v0
	s_waitcnt lgkmcnt(0)
	v_pk_mul_f32 v[10:11], v[4:5], v[8:9]
	s_nop 0
	v_sub_f32_e32 v0, v10, v11
	v_div_scale_f32 v12, s[8:9], v0, v0, 1.0
	v_rcp_f32_e32 v13, v12
	ds_read2_b32 v[10:11], v7 offset1:32
	v_div_scale_f32 v7, vcc, 1.0, v0, 1.0
	v_fma_f32 v14, -v12, v13, 1.0
	v_fmac_f32_e32 v13, v14, v13
	v_mul_f32_e32 v14, v7, v13
	v_fma_f32 v15, -v12, v14, v7
	v_fmac_f32_e32 v14, v15, v13
	v_fma_f32 v7, -v12, v14, v7
	v_div_fmas_f32 v7, v7, v13, v14
	s_waitcnt lgkmcnt(0)
	v_pk_mul_f32 v[4:5], v[4:5], v[10:11]
	v_div_fixup_f32 v0, v7, v0, 1.0
	v_sub_f32_e32 v4, v4, v5
	v_mul_f32_e32 v4, v0, v4
	ds_write_b32 v1, v4 offset:768
	v_mov_b32_e32 v4, v11
	v_mov_b32_e32 v5, v10
	v_pk_mul_f32 v[4:5], v[8:9], v[4:5]
	s_nop 0
	v_sub_f32_e32 v4, v4, v5
	v_mul_f32_e32 v8, v0, v4
	v_mov_b32_e32 v0, v6
.LBB13_13:
	s_or_b64 exec, exec, s[6:7]
	v_lshlrev_b32_e32 v0, 2, v0
	ds_write_b32 v0, v8 offset:768
.LBB13_14:
	s_or_b64 exec, exec, s[0:1]
	s_waitcnt lgkmcnt(0)
	; wave barrier
	s_and_saveexec_b64 s[0:1], s[2:3]
	s_cbranch_execz .LBB13_16
; %bb.15:
	ds_read_b32 v4, v1 offset:768
	v_lshl_add_u64 v[0:1], v[2:3], 2, s[4:5]
	s_waitcnt lgkmcnt(0)
	global_store_dword v[0:1], v4, off
.LBB13_16:
	s_endpgm
	.section	.rodata,"a",@progbits
	.p2align	6, 0x0
	.amdhsa_kernel _ZN9rocsparseL44gtsv_nopivot_strided_batch_pcr_shared_kernelILj64EfEEviiiPKT0_S3_S3_PS1_
		.amdhsa_group_segment_fixed_size 1280
		.amdhsa_private_segment_fixed_size 0
		.amdhsa_kernarg_size 48
		.amdhsa_user_sgpr_count 2
		.amdhsa_user_sgpr_dispatch_ptr 0
		.amdhsa_user_sgpr_queue_ptr 0
		.amdhsa_user_sgpr_kernarg_segment_ptr 1
		.amdhsa_user_sgpr_dispatch_id 0
		.amdhsa_user_sgpr_kernarg_preload_length 0
		.amdhsa_user_sgpr_kernarg_preload_offset 0
		.amdhsa_user_sgpr_private_segment_size 0
		.amdhsa_uses_dynamic_stack 0
		.amdhsa_enable_private_segment 0
		.amdhsa_system_sgpr_workgroup_id_x 1
		.amdhsa_system_sgpr_workgroup_id_y 0
		.amdhsa_system_sgpr_workgroup_id_z 0
		.amdhsa_system_sgpr_workgroup_info 0
		.amdhsa_system_vgpr_workitem_id 0
		.amdhsa_next_free_vgpr 21
		.amdhsa_next_free_sgpr 10
		.amdhsa_accum_offset 24
		.amdhsa_reserve_vcc 1
		.amdhsa_float_round_mode_32 0
		.amdhsa_float_round_mode_16_64 0
		.amdhsa_float_denorm_mode_32 3
		.amdhsa_float_denorm_mode_16_64 3
		.amdhsa_dx10_clamp 1
		.amdhsa_ieee_mode 1
		.amdhsa_fp16_overflow 0
		.amdhsa_tg_split 0
		.amdhsa_exception_fp_ieee_invalid_op 0
		.amdhsa_exception_fp_denorm_src 0
		.amdhsa_exception_fp_ieee_div_zero 0
		.amdhsa_exception_fp_ieee_overflow 0
		.amdhsa_exception_fp_ieee_underflow 0
		.amdhsa_exception_fp_ieee_inexact 0
		.amdhsa_exception_int_div_zero 0
	.end_amdhsa_kernel
	.section	.text._ZN9rocsparseL44gtsv_nopivot_strided_batch_pcr_shared_kernelILj64EfEEviiiPKT0_S3_S3_PS1_,"axG",@progbits,_ZN9rocsparseL44gtsv_nopivot_strided_batch_pcr_shared_kernelILj64EfEEviiiPKT0_S3_S3_PS1_,comdat
.Lfunc_end13:
	.size	_ZN9rocsparseL44gtsv_nopivot_strided_batch_pcr_shared_kernelILj64EfEEviiiPKT0_S3_S3_PS1_, .Lfunc_end13-_ZN9rocsparseL44gtsv_nopivot_strided_batch_pcr_shared_kernelILj64EfEEviiiPKT0_S3_S3_PS1_
                                        ; -- End function
	.set _ZN9rocsparseL44gtsv_nopivot_strided_batch_pcr_shared_kernelILj64EfEEviiiPKT0_S3_S3_PS1_.num_vgpr, 21
	.set _ZN9rocsparseL44gtsv_nopivot_strided_batch_pcr_shared_kernelILj64EfEEviiiPKT0_S3_S3_PS1_.num_agpr, 0
	.set _ZN9rocsparseL44gtsv_nopivot_strided_batch_pcr_shared_kernelILj64EfEEviiiPKT0_S3_S3_PS1_.numbered_sgpr, 10
	.set _ZN9rocsparseL44gtsv_nopivot_strided_batch_pcr_shared_kernelILj64EfEEviiiPKT0_S3_S3_PS1_.num_named_barrier, 0
	.set _ZN9rocsparseL44gtsv_nopivot_strided_batch_pcr_shared_kernelILj64EfEEviiiPKT0_S3_S3_PS1_.private_seg_size, 0
	.set _ZN9rocsparseL44gtsv_nopivot_strided_batch_pcr_shared_kernelILj64EfEEviiiPKT0_S3_S3_PS1_.uses_vcc, 1
	.set _ZN9rocsparseL44gtsv_nopivot_strided_batch_pcr_shared_kernelILj64EfEEviiiPKT0_S3_S3_PS1_.uses_flat_scratch, 0
	.set _ZN9rocsparseL44gtsv_nopivot_strided_batch_pcr_shared_kernelILj64EfEEviiiPKT0_S3_S3_PS1_.has_dyn_sized_stack, 0
	.set _ZN9rocsparseL44gtsv_nopivot_strided_batch_pcr_shared_kernelILj64EfEEviiiPKT0_S3_S3_PS1_.has_recursion, 0
	.set _ZN9rocsparseL44gtsv_nopivot_strided_batch_pcr_shared_kernelILj64EfEEviiiPKT0_S3_S3_PS1_.has_indirect_call, 0
	.section	.AMDGPU.csdata,"",@progbits
; Kernel info:
; codeLenInByte = 2340
; TotalNumSgprs: 16
; NumVgprs: 21
; NumAgprs: 0
; TotalNumVgprs: 21
; ScratchSize: 0
; MemoryBound: 0
; FloatMode: 240
; IeeeMode: 1
; LDSByteSize: 1280 bytes/workgroup (compile time only)
; SGPRBlocks: 1
; VGPRBlocks: 2
; NumSGPRsForWavesPerEU: 16
; NumVGPRsForWavesPerEU: 21
; AccumOffset: 24
; Occupancy: 8
; WaveLimiterHint : 0
; COMPUTE_PGM_RSRC2:SCRATCH_EN: 0
; COMPUTE_PGM_RSRC2:USER_SGPR: 2
; COMPUTE_PGM_RSRC2:TRAP_HANDLER: 0
; COMPUTE_PGM_RSRC2:TGID_X_EN: 1
; COMPUTE_PGM_RSRC2:TGID_Y_EN: 0
; COMPUTE_PGM_RSRC2:TGID_Z_EN: 0
; COMPUTE_PGM_RSRC2:TIDIG_COMP_CNT: 0
; COMPUTE_PGM_RSRC3_GFX90A:ACCUM_OFFSET: 5
; COMPUTE_PGM_RSRC3_GFX90A:TG_SPLIT: 0
	.section	.text._ZN9rocsparseL44gtsv_nopivot_strided_batch_pcr_shared_kernelILj128EfEEviiiPKT0_S3_S3_PS1_,"axG",@progbits,_ZN9rocsparseL44gtsv_nopivot_strided_batch_pcr_shared_kernelILj128EfEEviiiPKT0_S3_S3_PS1_,comdat
	.globl	_ZN9rocsparseL44gtsv_nopivot_strided_batch_pcr_shared_kernelILj128EfEEviiiPKT0_S3_S3_PS1_ ; -- Begin function _ZN9rocsparseL44gtsv_nopivot_strided_batch_pcr_shared_kernelILj128EfEEviiiPKT0_S3_S3_PS1_
	.p2align	8
	.type	_ZN9rocsparseL44gtsv_nopivot_strided_batch_pcr_shared_kernelILj128EfEEviiiPKT0_S3_S3_PS1_,@function
_ZN9rocsparseL44gtsv_nopivot_strided_batch_pcr_shared_kernelILj128EfEEviiiPKT0_S3_S3_PS1_: ; @_ZN9rocsparseL44gtsv_nopivot_strided_batch_pcr_shared_kernelILj128EfEEviiiPKT0_S3_S3_PS1_
; %bb.0:
	s_load_dword s3, s[0:1], 0x8
	s_load_dword s8, s[0:1], 0x0
	v_mov_b32_e32 v4, 0
	v_mov_b32_e32 v5, 0
	s_waitcnt lgkmcnt(0)
	s_mul_i32 s4, s3, s2
	v_add_u32_e32 v2, s4, v0
	v_cmp_gt_i32_e64 s[2:3], s8, v0
	v_ashrrev_i32_e32 v3, 31, v2
	s_and_saveexec_b64 s[4:5], s[2:3]
	s_cbranch_execz .LBB14_2
; %bb.1:
	s_load_dwordx2 s[6:7], s[0:1], 0x10
	s_waitcnt lgkmcnt(0)
	v_lshl_add_u64 v[6:7], v[2:3], 2, s[6:7]
	global_load_dword v5, v[6:7], off
.LBB14_2:
	s_or_b64 exec, exec, s[4:5]
	v_lshlrev_b32_e32 v1, 2, v0
	s_waitcnt vmcnt(0)
	ds_write_b32 v1, v5
	s_and_saveexec_b64 s[4:5], s[2:3]
	s_cbranch_execz .LBB14_4
; %bb.3:
	s_load_dwordx2 s[6:7], s[0:1], 0x18
	s_waitcnt lgkmcnt(0)
	v_lshl_add_u64 v[4:5], v[2:3], 2, s[6:7]
	global_load_dword v4, v[4:5], off
.LBB14_4:
	s_or_b64 exec, exec, s[4:5]
	s_load_dwordx2 s[4:5], s[0:1], 0x28
	v_mov_b32_e32 v6, 0
	v_mov_b32_e32 v7, 0
	s_waitcnt vmcnt(0)
	ds_write_b32 v1, v4 offset:512
	s_and_saveexec_b64 s[6:7], s[2:3]
	s_cbranch_execz .LBB14_6
; %bb.5:
	s_load_dwordx2 s[0:1], s[0:1], 0x20
	s_waitcnt lgkmcnt(0)
	v_lshl_add_u64 v[4:5], v[2:3], 2, s[0:1]
	global_load_dword v7, v[4:5], off
.LBB14_6:
	s_or_b64 exec, exec, s[6:7]
	v_or_b32_e32 v5, 0x200, v1
	v_or_b32_e32 v4, 0x400, v1
	s_waitcnt vmcnt(0)
	ds_write_b32 v1, v7 offset:1024
	s_and_saveexec_b64 s[0:1], s[2:3]
	s_cbranch_execz .LBB14_8
; %bb.7:
	s_waitcnt lgkmcnt(0)
	v_lshl_add_u64 v[6:7], v[2:3], 2, s[4:5]
	global_load_dword v6, v[6:7], off
.LBB14_8:
	s_or_b64 exec, exec, s[0:1]
	s_waitcnt vmcnt(0)
	ds_write_b32 v1, v6 offset:2048
	v_sub_u32_e64 v6, v0, 1 clamp
	v_lshlrev_b32_e32 v10, 2, v6
	s_waitcnt lgkmcnt(0)
	s_barrier
	ds_read2st64_b32 v[6:7], v10 offset1:2
	ds_read_b32 v11, v1
	ds_read_b32 v14, v4
	;; [unrolled: 1-line block ×3, first 2 shown]
	ds_read_b32 v16, v1 offset:2048
	v_add_u32_e32 v8, 1, v0
	s_waitcnt lgkmcnt(3)
	v_div_scale_f32 v12, s[0:1], v7, v7, v11
	v_rcp_f32_e32 v13, v12
	s_add_i32 s0, s8, -1
	v_min_i32_e32 v8, s0, v8
	v_lshlrev_b32_e32 v19, 2, v8
	v_fma_f32 v9, -v12, v13, 1.0
	v_fmac_f32_e32 v13, v9, v13
	ds_read2st64_b32 v[8:9], v19 offset1:2
	v_div_scale_f32 v17, vcc, v11, v7, v11
	v_mul_f32_e32 v18, v17, v13
	v_fma_f32 v20, -v12, v18, v17
	v_fmac_f32_e32 v18, v20, v13
	v_fma_f32 v12, -v12, v18, v17
	s_waitcnt lgkmcnt(0)
	v_div_scale_f32 v17, s[6:7], v9, v9, v14
	v_rcp_f32_e32 v20, v17
	v_div_fmas_f32 v12, v12, v13, v18
	v_div_fixup_f32 v7, v12, v7, v11
	v_mul_f32_e64 v6, v7, -v6
	v_fma_f32 v11, -v17, v20, 1.0
	v_fmac_f32_e32 v20, v11, v20
	v_div_scale_f32 v11, vcc, v14, v9, v14
	v_mul_f32_e32 v12, v11, v20
	v_fma_f32 v13, -v17, v12, v11
	v_fmac_f32_e32 v12, v13, v20
	v_fma_f32 v13, -v17, v12, v11
	ds_read2st64_b32 v[10:11], v10 offset0:4 offset1:8
	v_div_fmas_f32 v17, v13, v20, v12
	ds_read2st64_b32 v[12:13], v19 offset0:4 offset1:8
	v_div_fixup_f32 v9, v17, v9, v14
	s_waitcnt lgkmcnt(0)
	v_fma_f32 v10, -v7, v10, v15
	v_fma_f32 v8, -v9, v8, v10
	v_fma_f32 v10, -v7, v11, v16
	v_fma_f32 v10, -v9, v13, v10
	v_mul_f32_e64 v7, v9, -v12
	s_barrier
	ds_write_b32 v5, v8
	ds_write_b32 v1, v10 offset:2048
	ds_write_b32 v1, v6
	ds_write_b32 v4, v7
	v_sub_u32_e64 v6, v0, 2 clamp
	v_lshlrev_b32_e32 v10, 2, v6
	s_waitcnt lgkmcnt(0)
	s_barrier
	ds_read2st64_b32 v[6:7], v10 offset1:2
	ds_read_b32 v11, v1
	ds_read_b32 v14, v1 offset:2048
	v_add_u32_e32 v8, 2, v0
	v_min_i32_e32 v8, s0, v8
	v_lshlrev_b32_e32 v19, 2, v8
	s_waitcnt lgkmcnt(1)
	v_div_scale_f32 v12, s[6:7], v7, v7, v11
	v_rcp_f32_e32 v13, v12
	ds_read_b32 v15, v4
	ds_read_b32 v16, v5
	v_div_scale_f32 v17, vcc, v11, v7, v11
	v_fma_f32 v9, -v12, v13, 1.0
	v_fmac_f32_e32 v13, v9, v13
	ds_read2st64_b32 v[8:9], v19 offset1:2
	v_mul_f32_e32 v18, v17, v13
	v_fma_f32 v20, -v12, v18, v17
	v_fmac_f32_e32 v18, v20, v13
	v_fma_f32 v12, -v12, v18, v17
	s_waitcnt lgkmcnt(0)
	v_div_scale_f32 v17, s[6:7], v9, v9, v15
	v_rcp_f32_e32 v20, v17
	v_div_fmas_f32 v12, v12, v13, v18
	v_div_fixup_f32 v7, v12, v7, v11
	v_mul_f32_e64 v6, v7, -v6
	v_fma_f32 v11, -v17, v20, 1.0
	v_fmac_f32_e32 v20, v11, v20
	v_div_scale_f32 v11, vcc, v15, v9, v15
	v_mul_f32_e32 v12, v11, v20
	v_fma_f32 v13, -v17, v12, v11
	v_fmac_f32_e32 v12, v13, v20
	v_fma_f32 v13, -v17, v12, v11
	ds_read2st64_b32 v[10:11], v10 offset0:4 offset1:8
	v_div_fmas_f32 v17, v13, v20, v12
	ds_read2st64_b32 v[12:13], v19 offset0:4 offset1:8
	v_div_fixup_f32 v9, v17, v9, v15
	s_waitcnt lgkmcnt(0)
	v_fma_f32 v10, -v7, v10, v16
	v_fma_f32 v8, -v9, v8, v10
	v_fma_f32 v10, -v7, v11, v14
	v_fma_f32 v10, -v9, v13, v10
	v_mul_f32_e64 v7, v9, -v12
	s_barrier
	ds_write_b32 v5, v8
	ds_write_b32 v1, v10 offset:2048
	ds_write_b32 v1, v6
	ds_write_b32 v4, v7
	v_sub_u32_e64 v6, v0, 4 clamp
	v_lshlrev_b32_e32 v10, 2, v6
	s_waitcnt lgkmcnt(0)
	s_barrier
	ds_read2st64_b32 v[6:7], v10 offset1:2
	ds_read_b32 v11, v1
	ds_read_b32 v14, v1 offset:2048
	v_add_u32_e32 v8, 4, v0
	v_min_i32_e32 v8, s0, v8
	v_lshlrev_b32_e32 v19, 2, v8
	s_waitcnt lgkmcnt(1)
	v_div_scale_f32 v12, s[6:7], v7, v7, v11
	v_rcp_f32_e32 v13, v12
	ds_read_b32 v15, v4
	ds_read_b32 v16, v5
	v_div_scale_f32 v17, vcc, v11, v7, v11
	v_fma_f32 v9, -v12, v13, 1.0
	v_fmac_f32_e32 v13, v9, v13
	ds_read2st64_b32 v[8:9], v19 offset1:2
	;; [unrolled: 51-line block ×5, first 2 shown]
	v_mul_f32_e32 v18, v17, v13
	v_fma_f32 v20, -v12, v18, v17
	v_fmac_f32_e32 v18, v20, v13
	v_fma_f32 v12, -v12, v18, v17
	s_waitcnt lgkmcnt(0)
	v_div_scale_f32 v17, s[0:1], v9, v9, v15
	v_rcp_f32_e32 v20, v17
	v_div_fmas_f32 v12, v12, v13, v18
	v_div_fixup_f32 v7, v12, v7, v11
	v_mul_f32_e64 v6, v7, -v6
	v_fma_f32 v11, -v17, v20, 1.0
	v_fmac_f32_e32 v20, v11, v20
	v_div_scale_f32 v11, vcc, v15, v9, v15
	v_mul_f32_e32 v12, v11, v20
	v_fma_f32 v13, -v17, v12, v11
	v_fmac_f32_e32 v12, v13, v20
	v_fma_f32 v13, -v17, v12, v11
	ds_read2st64_b32 v[10:11], v10 offset0:4 offset1:8
	v_div_fmas_f32 v17, v13, v20, v12
	ds_read2st64_b32 v[12:13], v19 offset0:4 offset1:8
	v_div_fixup_f32 v9, v17, v9, v15
	v_cmp_gt_u32_e32 vcc, 64, v0
	s_waitcnt lgkmcnt(1)
	v_fma_f32 v10, -v7, v10, v16
	v_fma_f32 v8, -v9, v8, v10
	;; [unrolled: 1-line block ×3, first 2 shown]
	s_waitcnt lgkmcnt(0)
	v_fma_f32 v10, -v9, v13, v10
	v_mul_f32_e64 v7, v9, -v12
	s_barrier
	ds_write_b32 v5, v8
	ds_write_b32 v1, v10 offset:2048
	ds_write_b32 v1, v6
	ds_write_b32 v4, v7
	s_waitcnt lgkmcnt(0)
	s_barrier
	s_and_saveexec_b64 s[0:1], vcc
	s_cbranch_execz .LBB14_14
; %bb.9:
	v_or_b32_e32 v6, 64, v0
	v_or_b32_e32 v7, 0x800, v1
	v_cmp_le_i32_e32 vcc, s8, v6
                                        ; implicit-def: $vgpr8
	s_and_saveexec_b64 s[6:7], vcc
	s_xor_b64 s[6:7], exec, s[6:7]
	s_cbranch_execz .LBB14_11
; %bb.10:
	ds_read_b32 v4, v7
	ds_read_b32 v5, v5
	s_waitcnt lgkmcnt(0)
	v_div_scale_f32 v6, s[8:9], v5, v5, v4
	v_rcp_f32_e32 v7, v6
	v_div_scale_f32 v8, vcc, v4, v5, v4
	v_fma_f32 v9, -v6, v7, 1.0
	v_fmac_f32_e32 v7, v9, v7
	v_mul_f32_e32 v9, v8, v7
	v_fma_f32 v10, -v6, v9, v8
	v_fmac_f32_e32 v9, v10, v7
	v_fma_f32 v6, -v6, v9, v8
	v_div_fmas_f32 v6, v6, v7, v9
	v_div_fixup_f32 v8, v6, v5, v4
                                        ; implicit-def: $vgpr5
                                        ; implicit-def: $vgpr4
                                        ; implicit-def: $vgpr7
                                        ; implicit-def: $vgpr6
.LBB14_11:
	s_andn2_saveexec_b64 s[6:7], s[6:7]
	s_cbranch_execz .LBB14_13
; %bb.12:
	ds_read2st64_b32 v[8:9], v5 offset1:1
	ds_read_b32 v0, v1 offset:256
	ds_read_b32 v5, v4
	s_waitcnt lgkmcnt(2)
	v_mov_b32_e32 v4, v9
	s_waitcnt lgkmcnt(1)
	v_mov_b32_e32 v9, v0
	s_waitcnt lgkmcnt(0)
	v_pk_mul_f32 v[10:11], v[4:5], v[8:9]
	s_nop 0
	v_sub_f32_e32 v0, v10, v11
	v_div_scale_f32 v12, s[8:9], v0, v0, 1.0
	v_rcp_f32_e32 v13, v12
	ds_read2st64_b32 v[10:11], v7 offset1:1
	v_div_scale_f32 v7, vcc, 1.0, v0, 1.0
	v_fma_f32 v14, -v12, v13, 1.0
	v_fmac_f32_e32 v13, v14, v13
	v_mul_f32_e32 v14, v7, v13
	v_fma_f32 v15, -v12, v14, v7
	v_fmac_f32_e32 v14, v15, v13
	v_fma_f32 v7, -v12, v14, v7
	v_div_fmas_f32 v7, v7, v13, v14
	s_waitcnt lgkmcnt(0)
	v_pk_mul_f32 v[4:5], v[4:5], v[10:11]
	v_div_fixup_f32 v0, v7, v0, 1.0
	v_sub_f32_e32 v4, v4, v5
	v_mul_f32_e32 v4, v0, v4
	ds_write_b32 v1, v4 offset:1536
	v_mov_b32_e32 v4, v11
	v_mov_b32_e32 v5, v10
	v_pk_mul_f32 v[4:5], v[8:9], v[4:5]
	s_nop 0
	v_sub_f32_e32 v4, v4, v5
	v_mul_f32_e32 v8, v0, v4
	v_mov_b32_e32 v0, v6
.LBB14_13:
	s_or_b64 exec, exec, s[6:7]
	v_lshlrev_b32_e32 v0, 2, v0
	ds_write_b32 v0, v8 offset:1536
.LBB14_14:
	s_or_b64 exec, exec, s[0:1]
	s_waitcnt lgkmcnt(0)
	s_barrier
	s_and_saveexec_b64 s[0:1], s[2:3]
	s_cbranch_execz .LBB14_16
; %bb.15:
	ds_read_b32 v4, v1 offset:1536
	v_lshl_add_u64 v[0:1], v[2:3], 2, s[4:5]
	s_waitcnt lgkmcnt(0)
	global_store_dword v[0:1], v4, off
.LBB14_16:
	s_endpgm
	.section	.rodata,"a",@progbits
	.p2align	6, 0x0
	.amdhsa_kernel _ZN9rocsparseL44gtsv_nopivot_strided_batch_pcr_shared_kernelILj128EfEEviiiPKT0_S3_S3_PS1_
		.amdhsa_group_segment_fixed_size 2560
		.amdhsa_private_segment_fixed_size 0
		.amdhsa_kernarg_size 48
		.amdhsa_user_sgpr_count 2
		.amdhsa_user_sgpr_dispatch_ptr 0
		.amdhsa_user_sgpr_queue_ptr 0
		.amdhsa_user_sgpr_kernarg_segment_ptr 1
		.amdhsa_user_sgpr_dispatch_id 0
		.amdhsa_user_sgpr_kernarg_preload_length 0
		.amdhsa_user_sgpr_kernarg_preload_offset 0
		.amdhsa_user_sgpr_private_segment_size 0
		.amdhsa_uses_dynamic_stack 0
		.amdhsa_enable_private_segment 0
		.amdhsa_system_sgpr_workgroup_id_x 1
		.amdhsa_system_sgpr_workgroup_id_y 0
		.amdhsa_system_sgpr_workgroup_id_z 0
		.amdhsa_system_sgpr_workgroup_info 0
		.amdhsa_system_vgpr_workitem_id 0
		.amdhsa_next_free_vgpr 21
		.amdhsa_next_free_sgpr 10
		.amdhsa_accum_offset 24
		.amdhsa_reserve_vcc 1
		.amdhsa_float_round_mode_32 0
		.amdhsa_float_round_mode_16_64 0
		.amdhsa_float_denorm_mode_32 3
		.amdhsa_float_denorm_mode_16_64 3
		.amdhsa_dx10_clamp 1
		.amdhsa_ieee_mode 1
		.amdhsa_fp16_overflow 0
		.amdhsa_tg_split 0
		.amdhsa_exception_fp_ieee_invalid_op 0
		.amdhsa_exception_fp_denorm_src 0
		.amdhsa_exception_fp_ieee_div_zero 0
		.amdhsa_exception_fp_ieee_overflow 0
		.amdhsa_exception_fp_ieee_underflow 0
		.amdhsa_exception_fp_ieee_inexact 0
		.amdhsa_exception_int_div_zero 0
	.end_amdhsa_kernel
	.section	.text._ZN9rocsparseL44gtsv_nopivot_strided_batch_pcr_shared_kernelILj128EfEEviiiPKT0_S3_S3_PS1_,"axG",@progbits,_ZN9rocsparseL44gtsv_nopivot_strided_batch_pcr_shared_kernelILj128EfEEviiiPKT0_S3_S3_PS1_,comdat
.Lfunc_end14:
	.size	_ZN9rocsparseL44gtsv_nopivot_strided_batch_pcr_shared_kernelILj128EfEEviiiPKT0_S3_S3_PS1_, .Lfunc_end14-_ZN9rocsparseL44gtsv_nopivot_strided_batch_pcr_shared_kernelILj128EfEEviiiPKT0_S3_S3_PS1_
                                        ; -- End function
	.set _ZN9rocsparseL44gtsv_nopivot_strided_batch_pcr_shared_kernelILj128EfEEviiiPKT0_S3_S3_PS1_.num_vgpr, 21
	.set _ZN9rocsparseL44gtsv_nopivot_strided_batch_pcr_shared_kernelILj128EfEEviiiPKT0_S3_S3_PS1_.num_agpr, 0
	.set _ZN9rocsparseL44gtsv_nopivot_strided_batch_pcr_shared_kernelILj128EfEEviiiPKT0_S3_S3_PS1_.numbered_sgpr, 10
	.set _ZN9rocsparseL44gtsv_nopivot_strided_batch_pcr_shared_kernelILj128EfEEviiiPKT0_S3_S3_PS1_.num_named_barrier, 0
	.set _ZN9rocsparseL44gtsv_nopivot_strided_batch_pcr_shared_kernelILj128EfEEviiiPKT0_S3_S3_PS1_.private_seg_size, 0
	.set _ZN9rocsparseL44gtsv_nopivot_strided_batch_pcr_shared_kernelILj128EfEEviiiPKT0_S3_S3_PS1_.uses_vcc, 1
	.set _ZN9rocsparseL44gtsv_nopivot_strided_batch_pcr_shared_kernelILj128EfEEviiiPKT0_S3_S3_PS1_.uses_flat_scratch, 0
	.set _ZN9rocsparseL44gtsv_nopivot_strided_batch_pcr_shared_kernelILj128EfEEviiiPKT0_S3_S3_PS1_.has_dyn_sized_stack, 0
	.set _ZN9rocsparseL44gtsv_nopivot_strided_batch_pcr_shared_kernelILj128EfEEviiiPKT0_S3_S3_PS1_.has_recursion, 0
	.set _ZN9rocsparseL44gtsv_nopivot_strided_batch_pcr_shared_kernelILj128EfEEviiiPKT0_S3_S3_PS1_.has_indirect_call, 0
	.section	.AMDGPU.csdata,"",@progbits
; Kernel info:
; codeLenInByte = 2724
; TotalNumSgprs: 16
; NumVgprs: 21
; NumAgprs: 0
; TotalNumVgprs: 21
; ScratchSize: 0
; MemoryBound: 0
; FloatMode: 240
; IeeeMode: 1
; LDSByteSize: 2560 bytes/workgroup (compile time only)
; SGPRBlocks: 1
; VGPRBlocks: 2
; NumSGPRsForWavesPerEU: 16
; NumVGPRsForWavesPerEU: 21
; AccumOffset: 24
; Occupancy: 8
; WaveLimiterHint : 0
; COMPUTE_PGM_RSRC2:SCRATCH_EN: 0
; COMPUTE_PGM_RSRC2:USER_SGPR: 2
; COMPUTE_PGM_RSRC2:TRAP_HANDLER: 0
; COMPUTE_PGM_RSRC2:TGID_X_EN: 1
; COMPUTE_PGM_RSRC2:TGID_Y_EN: 0
; COMPUTE_PGM_RSRC2:TGID_Z_EN: 0
; COMPUTE_PGM_RSRC2:TIDIG_COMP_CNT: 0
; COMPUTE_PGM_RSRC3_GFX90A:ACCUM_OFFSET: 5
; COMPUTE_PGM_RSRC3_GFX90A:TG_SPLIT: 0
	.section	.text._ZN9rocsparseL44gtsv_nopivot_strided_batch_pcr_shared_kernelILj256EfEEviiiPKT0_S3_S3_PS1_,"axG",@progbits,_ZN9rocsparseL44gtsv_nopivot_strided_batch_pcr_shared_kernelILj256EfEEviiiPKT0_S3_S3_PS1_,comdat
	.globl	_ZN9rocsparseL44gtsv_nopivot_strided_batch_pcr_shared_kernelILj256EfEEviiiPKT0_S3_S3_PS1_ ; -- Begin function _ZN9rocsparseL44gtsv_nopivot_strided_batch_pcr_shared_kernelILj256EfEEviiiPKT0_S3_S3_PS1_
	.p2align	8
	.type	_ZN9rocsparseL44gtsv_nopivot_strided_batch_pcr_shared_kernelILj256EfEEviiiPKT0_S3_S3_PS1_,@function
_ZN9rocsparseL44gtsv_nopivot_strided_batch_pcr_shared_kernelILj256EfEEviiiPKT0_S3_S3_PS1_: ; @_ZN9rocsparseL44gtsv_nopivot_strided_batch_pcr_shared_kernelILj256EfEEviiiPKT0_S3_S3_PS1_
; %bb.0:
	s_load_dword s3, s[0:1], 0x8
	s_load_dword s8, s[0:1], 0x0
	v_mov_b32_e32 v4, 0
	v_mov_b32_e32 v5, 0
	s_waitcnt lgkmcnt(0)
	s_mul_i32 s4, s3, s2
	v_add_u32_e32 v2, s4, v0
	v_cmp_gt_i32_e64 s[2:3], s8, v0
	v_ashrrev_i32_e32 v3, 31, v2
	s_and_saveexec_b64 s[4:5], s[2:3]
	s_cbranch_execz .LBB15_2
; %bb.1:
	s_load_dwordx2 s[6:7], s[0:1], 0x10
	s_waitcnt lgkmcnt(0)
	v_lshl_add_u64 v[6:7], v[2:3], 2, s[6:7]
	global_load_dword v5, v[6:7], off
.LBB15_2:
	s_or_b64 exec, exec, s[4:5]
	v_lshlrev_b32_e32 v1, 2, v0
	s_waitcnt vmcnt(0)
	ds_write_b32 v1, v5
	s_and_saveexec_b64 s[4:5], s[2:3]
	s_cbranch_execz .LBB15_4
; %bb.3:
	s_load_dwordx2 s[6:7], s[0:1], 0x18
	s_waitcnt lgkmcnt(0)
	v_lshl_add_u64 v[4:5], v[2:3], 2, s[6:7]
	global_load_dword v4, v[4:5], off
.LBB15_4:
	s_or_b64 exec, exec, s[4:5]
	s_load_dwordx2 s[4:5], s[0:1], 0x28
	v_mov_b32_e32 v6, 0
	v_mov_b32_e32 v7, 0
	s_waitcnt vmcnt(0)
	ds_write_b32 v1, v4 offset:1024
	s_and_saveexec_b64 s[6:7], s[2:3]
	s_cbranch_execz .LBB15_6
; %bb.5:
	s_load_dwordx2 s[0:1], s[0:1], 0x20
	s_waitcnt lgkmcnt(0)
	v_lshl_add_u64 v[4:5], v[2:3], 2, s[0:1]
	global_load_dword v7, v[4:5], off
.LBB15_6:
	s_or_b64 exec, exec, s[6:7]
	v_or_b32_e32 v5, 0x400, v1
	v_or_b32_e32 v4, 0x800, v1
	s_waitcnt vmcnt(0)
	ds_write_b32 v1, v7 offset:2048
	s_and_saveexec_b64 s[0:1], s[2:3]
	s_cbranch_execz .LBB15_8
; %bb.7:
	s_waitcnt lgkmcnt(0)
	v_lshl_add_u64 v[6:7], v[2:3], 2, s[4:5]
	global_load_dword v6, v[6:7], off
.LBB15_8:
	s_or_b64 exec, exec, s[0:1]
	s_waitcnt vmcnt(0)
	ds_write_b32 v1, v6 offset:4096
	v_sub_u32_e64 v6, v0, 1 clamp
	v_lshlrev_b32_e32 v10, 2, v6
	s_waitcnt lgkmcnt(0)
	s_barrier
	ds_read2st64_b32 v[6:7], v10 offset1:4
	ds_read_b32 v11, v1
	ds_read_b32 v14, v4
	;; [unrolled: 1-line block ×3, first 2 shown]
	ds_read_b32 v16, v1 offset:4096
	v_add_u32_e32 v8, 1, v0
	s_waitcnt lgkmcnt(3)
	v_div_scale_f32 v12, s[0:1], v7, v7, v11
	v_rcp_f32_e32 v13, v12
	s_add_i32 s0, s8, -1
	v_min_i32_e32 v8, s0, v8
	v_lshlrev_b32_e32 v19, 2, v8
	v_fma_f32 v9, -v12, v13, 1.0
	v_fmac_f32_e32 v13, v9, v13
	ds_read2st64_b32 v[8:9], v19 offset1:4
	v_div_scale_f32 v17, vcc, v11, v7, v11
	v_mul_f32_e32 v18, v17, v13
	v_fma_f32 v20, -v12, v18, v17
	v_fmac_f32_e32 v18, v20, v13
	v_fma_f32 v12, -v12, v18, v17
	s_waitcnt lgkmcnt(0)
	v_div_scale_f32 v17, s[6:7], v9, v9, v14
	v_rcp_f32_e32 v20, v17
	v_div_fmas_f32 v12, v12, v13, v18
	v_div_fixup_f32 v7, v12, v7, v11
	v_mul_f32_e64 v6, v7, -v6
	v_fma_f32 v11, -v17, v20, 1.0
	v_fmac_f32_e32 v20, v11, v20
	v_div_scale_f32 v11, vcc, v14, v9, v14
	v_mul_f32_e32 v12, v11, v20
	v_fma_f32 v13, -v17, v12, v11
	v_fmac_f32_e32 v12, v13, v20
	v_fma_f32 v13, -v17, v12, v11
	ds_read2st64_b32 v[10:11], v10 offset0:8 offset1:16
	v_div_fmas_f32 v17, v13, v20, v12
	ds_read2st64_b32 v[12:13], v19 offset0:8 offset1:16
	v_div_fixup_f32 v9, v17, v9, v14
	s_waitcnt lgkmcnt(0)
	v_fma_f32 v10, -v7, v10, v15
	v_fma_f32 v8, -v9, v8, v10
	v_fma_f32 v10, -v7, v11, v16
	v_fma_f32 v10, -v9, v13, v10
	v_mul_f32_e64 v7, v9, -v12
	s_barrier
	ds_write_b32 v5, v8
	ds_write_b32 v1, v10 offset:4096
	ds_write_b32 v1, v6
	ds_write_b32 v4, v7
	v_sub_u32_e64 v6, v0, 2 clamp
	v_lshlrev_b32_e32 v10, 2, v6
	s_waitcnt lgkmcnt(0)
	s_barrier
	ds_read2st64_b32 v[6:7], v10 offset1:4
	ds_read_b32 v11, v1
	ds_read_b32 v14, v1 offset:4096
	v_add_u32_e32 v8, 2, v0
	v_min_i32_e32 v8, s0, v8
	v_lshlrev_b32_e32 v19, 2, v8
	s_waitcnt lgkmcnt(1)
	v_div_scale_f32 v12, s[6:7], v7, v7, v11
	v_rcp_f32_e32 v13, v12
	ds_read_b32 v15, v4
	ds_read_b32 v16, v5
	v_div_scale_f32 v17, vcc, v11, v7, v11
	v_fma_f32 v9, -v12, v13, 1.0
	v_fmac_f32_e32 v13, v9, v13
	ds_read2st64_b32 v[8:9], v19 offset1:4
	v_mul_f32_e32 v18, v17, v13
	v_fma_f32 v20, -v12, v18, v17
	v_fmac_f32_e32 v18, v20, v13
	v_fma_f32 v12, -v12, v18, v17
	s_waitcnt lgkmcnt(0)
	v_div_scale_f32 v17, s[6:7], v9, v9, v15
	v_rcp_f32_e32 v20, v17
	v_div_fmas_f32 v12, v12, v13, v18
	v_div_fixup_f32 v7, v12, v7, v11
	v_mul_f32_e64 v6, v7, -v6
	v_fma_f32 v11, -v17, v20, 1.0
	v_fmac_f32_e32 v20, v11, v20
	v_div_scale_f32 v11, vcc, v15, v9, v15
	v_mul_f32_e32 v12, v11, v20
	v_fma_f32 v13, -v17, v12, v11
	v_fmac_f32_e32 v12, v13, v20
	v_fma_f32 v13, -v17, v12, v11
	ds_read2st64_b32 v[10:11], v10 offset0:8 offset1:16
	v_div_fmas_f32 v17, v13, v20, v12
	ds_read2st64_b32 v[12:13], v19 offset0:8 offset1:16
	v_div_fixup_f32 v9, v17, v9, v15
	s_waitcnt lgkmcnt(0)
	v_fma_f32 v10, -v7, v10, v16
	v_fma_f32 v8, -v9, v8, v10
	v_fma_f32 v10, -v7, v11, v14
	v_fma_f32 v10, -v9, v13, v10
	v_mul_f32_e64 v7, v9, -v12
	s_barrier
	ds_write_b32 v5, v8
	ds_write_b32 v1, v10 offset:4096
	ds_write_b32 v1, v6
	ds_write_b32 v4, v7
	v_sub_u32_e64 v6, v0, 4 clamp
	v_lshlrev_b32_e32 v10, 2, v6
	s_waitcnt lgkmcnt(0)
	s_barrier
	ds_read2st64_b32 v[6:7], v10 offset1:4
	ds_read_b32 v11, v1
	ds_read_b32 v14, v1 offset:4096
	v_add_u32_e32 v8, 4, v0
	v_min_i32_e32 v8, s0, v8
	v_lshlrev_b32_e32 v19, 2, v8
	s_waitcnt lgkmcnt(1)
	v_div_scale_f32 v12, s[6:7], v7, v7, v11
	v_rcp_f32_e32 v13, v12
	ds_read_b32 v15, v4
	ds_read_b32 v16, v5
	v_div_scale_f32 v17, vcc, v11, v7, v11
	v_fma_f32 v9, -v12, v13, 1.0
	v_fmac_f32_e32 v13, v9, v13
	ds_read2st64_b32 v[8:9], v19 offset1:4
	;; [unrolled: 51-line block ×6, first 2 shown]
	v_mul_f32_e32 v18, v17, v13
	v_fma_f32 v20, -v12, v18, v17
	v_fmac_f32_e32 v18, v20, v13
	v_fma_f32 v12, -v12, v18, v17
	s_waitcnt lgkmcnt(0)
	v_div_scale_f32 v17, s[0:1], v9, v9, v15
	v_rcp_f32_e32 v20, v17
	v_div_fmas_f32 v12, v12, v13, v18
	v_div_fixup_f32 v7, v12, v7, v11
	s_movk_i32 s0, 0x80
	v_fma_f32 v11, -v17, v20, 1.0
	v_fmac_f32_e32 v20, v11, v20
	v_div_scale_f32 v11, vcc, v15, v9, v15
	v_mul_f32_e32 v12, v11, v20
	v_fma_f32 v13, -v17, v12, v11
	v_fmac_f32_e32 v12, v13, v20
	v_fma_f32 v13, -v17, v12, v11
	ds_read2st64_b32 v[10:11], v10 offset0:8 offset1:16
	v_div_fmas_f32 v17, v13, v20, v12
	ds_read2st64_b32 v[12:13], v19 offset0:8 offset1:16
	v_div_fixup_f32 v9, v17, v9, v15
	v_cmp_gt_u32_e32 vcc, s0, v0
	s_waitcnt lgkmcnt(1)
	v_fma_f32 v10, -v7, v10, v16
	v_fma_f32 v8, -v9, v8, v10
	;; [unrolled: 1-line block ×3, first 2 shown]
	s_waitcnt lgkmcnt(0)
	v_fma_f32 v10, -v9, v13, v10
	v_mul_f32_e64 v6, v7, -v6
	v_mul_f32_e64 v7, v9, -v12
	s_barrier
	ds_write_b32 v5, v8
	ds_write_b32 v1, v10 offset:4096
	ds_write_b32 v1, v6
	ds_write_b32 v4, v7
	s_waitcnt lgkmcnt(0)
	s_barrier
	s_and_saveexec_b64 s[0:1], vcc
	s_cbranch_execz .LBB15_14
; %bb.9:
	v_or_b32_e32 v6, 0x80, v0
	v_or_b32_e32 v7, 0x1000, v1
	v_cmp_le_i32_e32 vcc, s8, v6
                                        ; implicit-def: $vgpr8
	s_and_saveexec_b64 s[6:7], vcc
	s_xor_b64 s[6:7], exec, s[6:7]
	s_cbranch_execz .LBB15_11
; %bb.10:
	ds_read_b32 v4, v7
	ds_read_b32 v5, v5
	s_waitcnt lgkmcnt(0)
	v_div_scale_f32 v6, s[8:9], v5, v5, v4
	v_rcp_f32_e32 v7, v6
	v_div_scale_f32 v8, vcc, v4, v5, v4
	v_fma_f32 v9, -v6, v7, 1.0
	v_fmac_f32_e32 v7, v9, v7
	v_mul_f32_e32 v9, v8, v7
	v_fma_f32 v10, -v6, v9, v8
	v_fmac_f32_e32 v9, v10, v7
	v_fma_f32 v6, -v6, v9, v8
	v_div_fmas_f32 v6, v6, v7, v9
	v_div_fixup_f32 v8, v6, v5, v4
                                        ; implicit-def: $vgpr5
                                        ; implicit-def: $vgpr4
                                        ; implicit-def: $vgpr7
                                        ; implicit-def: $vgpr6
.LBB15_11:
	s_andn2_saveexec_b64 s[6:7], s[6:7]
	s_cbranch_execz .LBB15_13
; %bb.12:
	ds_read2st64_b32 v[8:9], v5 offset1:2
	ds_read_b32 v0, v1 offset:512
	ds_read_b32 v5, v4
	s_waitcnt lgkmcnt(2)
	v_mov_b32_e32 v4, v9
	s_waitcnt lgkmcnt(1)
	v_mov_b32_e32 v9, v0
	s_waitcnt lgkmcnt(0)
	v_pk_mul_f32 v[10:11], v[4:5], v[8:9]
	s_nop 0
	v_sub_f32_e32 v0, v10, v11
	v_div_scale_f32 v12, s[8:9], v0, v0, 1.0
	v_rcp_f32_e32 v13, v12
	ds_read2st64_b32 v[10:11], v7 offset1:2
	v_div_scale_f32 v7, vcc, 1.0, v0, 1.0
	v_fma_f32 v14, -v12, v13, 1.0
	v_fmac_f32_e32 v13, v14, v13
	v_mul_f32_e32 v14, v7, v13
	v_fma_f32 v15, -v12, v14, v7
	v_fmac_f32_e32 v14, v15, v13
	v_fma_f32 v7, -v12, v14, v7
	v_div_fmas_f32 v7, v7, v13, v14
	s_waitcnt lgkmcnt(0)
	v_pk_mul_f32 v[4:5], v[4:5], v[10:11]
	v_div_fixup_f32 v0, v7, v0, 1.0
	v_sub_f32_e32 v4, v4, v5
	v_mul_f32_e32 v4, v0, v4
	ds_write_b32 v1, v4 offset:3072
	v_mov_b32_e32 v4, v11
	v_mov_b32_e32 v5, v10
	v_pk_mul_f32 v[4:5], v[8:9], v[4:5]
	s_nop 0
	v_sub_f32_e32 v4, v4, v5
	v_mul_f32_e32 v8, v0, v4
	v_mov_b32_e32 v0, v6
.LBB15_13:
	s_or_b64 exec, exec, s[6:7]
	v_lshlrev_b32_e32 v0, 2, v0
	ds_write_b32 v0, v8 offset:3072
.LBB15_14:
	s_or_b64 exec, exec, s[0:1]
	s_waitcnt lgkmcnt(0)
	s_barrier
	s_and_saveexec_b64 s[0:1], s[2:3]
	s_cbranch_execz .LBB15_16
; %bb.15:
	ds_read_b32 v4, v1 offset:3072
	v_lshl_add_u64 v[0:1], v[2:3], 2, s[4:5]
	s_waitcnt lgkmcnt(0)
	global_store_dword v[0:1], v4, off
.LBB15_16:
	s_endpgm
	.section	.rodata,"a",@progbits
	.p2align	6, 0x0
	.amdhsa_kernel _ZN9rocsparseL44gtsv_nopivot_strided_batch_pcr_shared_kernelILj256EfEEviiiPKT0_S3_S3_PS1_
		.amdhsa_group_segment_fixed_size 5120
		.amdhsa_private_segment_fixed_size 0
		.amdhsa_kernarg_size 48
		.amdhsa_user_sgpr_count 2
		.amdhsa_user_sgpr_dispatch_ptr 0
		.amdhsa_user_sgpr_queue_ptr 0
		.amdhsa_user_sgpr_kernarg_segment_ptr 1
		.amdhsa_user_sgpr_dispatch_id 0
		.amdhsa_user_sgpr_kernarg_preload_length 0
		.amdhsa_user_sgpr_kernarg_preload_offset 0
		.amdhsa_user_sgpr_private_segment_size 0
		.amdhsa_uses_dynamic_stack 0
		.amdhsa_enable_private_segment 0
		.amdhsa_system_sgpr_workgroup_id_x 1
		.amdhsa_system_sgpr_workgroup_id_y 0
		.amdhsa_system_sgpr_workgroup_id_z 0
		.amdhsa_system_sgpr_workgroup_info 0
		.amdhsa_system_vgpr_workitem_id 0
		.amdhsa_next_free_vgpr 21
		.amdhsa_next_free_sgpr 10
		.amdhsa_accum_offset 24
		.amdhsa_reserve_vcc 1
		.amdhsa_float_round_mode_32 0
		.amdhsa_float_round_mode_16_64 0
		.amdhsa_float_denorm_mode_32 3
		.amdhsa_float_denorm_mode_16_64 3
		.amdhsa_dx10_clamp 1
		.amdhsa_ieee_mode 1
		.amdhsa_fp16_overflow 0
		.amdhsa_tg_split 0
		.amdhsa_exception_fp_ieee_invalid_op 0
		.amdhsa_exception_fp_denorm_src 0
		.amdhsa_exception_fp_ieee_div_zero 0
		.amdhsa_exception_fp_ieee_overflow 0
		.amdhsa_exception_fp_ieee_underflow 0
		.amdhsa_exception_fp_ieee_inexact 0
		.amdhsa_exception_int_div_zero 0
	.end_amdhsa_kernel
	.section	.text._ZN9rocsparseL44gtsv_nopivot_strided_batch_pcr_shared_kernelILj256EfEEviiiPKT0_S3_S3_PS1_,"axG",@progbits,_ZN9rocsparseL44gtsv_nopivot_strided_batch_pcr_shared_kernelILj256EfEEviiiPKT0_S3_S3_PS1_,comdat
.Lfunc_end15:
	.size	_ZN9rocsparseL44gtsv_nopivot_strided_batch_pcr_shared_kernelILj256EfEEviiiPKT0_S3_S3_PS1_, .Lfunc_end15-_ZN9rocsparseL44gtsv_nopivot_strided_batch_pcr_shared_kernelILj256EfEEviiiPKT0_S3_S3_PS1_
                                        ; -- End function
	.set _ZN9rocsparseL44gtsv_nopivot_strided_batch_pcr_shared_kernelILj256EfEEviiiPKT0_S3_S3_PS1_.num_vgpr, 21
	.set _ZN9rocsparseL44gtsv_nopivot_strided_batch_pcr_shared_kernelILj256EfEEviiiPKT0_S3_S3_PS1_.num_agpr, 0
	.set _ZN9rocsparseL44gtsv_nopivot_strided_batch_pcr_shared_kernelILj256EfEEviiiPKT0_S3_S3_PS1_.numbered_sgpr, 10
	.set _ZN9rocsparseL44gtsv_nopivot_strided_batch_pcr_shared_kernelILj256EfEEviiiPKT0_S3_S3_PS1_.num_named_barrier, 0
	.set _ZN9rocsparseL44gtsv_nopivot_strided_batch_pcr_shared_kernelILj256EfEEviiiPKT0_S3_S3_PS1_.private_seg_size, 0
	.set _ZN9rocsparseL44gtsv_nopivot_strided_batch_pcr_shared_kernelILj256EfEEviiiPKT0_S3_S3_PS1_.uses_vcc, 1
	.set _ZN9rocsparseL44gtsv_nopivot_strided_batch_pcr_shared_kernelILj256EfEEviiiPKT0_S3_S3_PS1_.uses_flat_scratch, 0
	.set _ZN9rocsparseL44gtsv_nopivot_strided_batch_pcr_shared_kernelILj256EfEEviiiPKT0_S3_S3_PS1_.has_dyn_sized_stack, 0
	.set _ZN9rocsparseL44gtsv_nopivot_strided_batch_pcr_shared_kernelILj256EfEEviiiPKT0_S3_S3_PS1_.has_recursion, 0
	.set _ZN9rocsparseL44gtsv_nopivot_strided_batch_pcr_shared_kernelILj256EfEEviiiPKT0_S3_S3_PS1_.has_indirect_call, 0
	.section	.AMDGPU.csdata,"",@progbits
; Kernel info:
; codeLenInByte = 3068
; TotalNumSgprs: 16
; NumVgprs: 21
; NumAgprs: 0
; TotalNumVgprs: 21
; ScratchSize: 0
; MemoryBound: 0
; FloatMode: 240
; IeeeMode: 1
; LDSByteSize: 5120 bytes/workgroup (compile time only)
; SGPRBlocks: 1
; VGPRBlocks: 2
; NumSGPRsForWavesPerEU: 16
; NumVGPRsForWavesPerEU: 21
; AccumOffset: 24
; Occupancy: 8
; WaveLimiterHint : 0
; COMPUTE_PGM_RSRC2:SCRATCH_EN: 0
; COMPUTE_PGM_RSRC2:USER_SGPR: 2
; COMPUTE_PGM_RSRC2:TRAP_HANDLER: 0
; COMPUTE_PGM_RSRC2:TGID_X_EN: 1
; COMPUTE_PGM_RSRC2:TGID_Y_EN: 0
; COMPUTE_PGM_RSRC2:TGID_Z_EN: 0
; COMPUTE_PGM_RSRC2:TIDIG_COMP_CNT: 0
; COMPUTE_PGM_RSRC3_GFX90A:ACCUM_OFFSET: 5
; COMPUTE_PGM_RSRC3_GFX90A:TG_SPLIT: 0
	.section	.text._ZN9rocsparseL44gtsv_nopivot_strided_batch_pcr_shared_kernelILj512EfEEviiiPKT0_S3_S3_PS1_,"axG",@progbits,_ZN9rocsparseL44gtsv_nopivot_strided_batch_pcr_shared_kernelILj512EfEEviiiPKT0_S3_S3_PS1_,comdat
	.globl	_ZN9rocsparseL44gtsv_nopivot_strided_batch_pcr_shared_kernelILj512EfEEviiiPKT0_S3_S3_PS1_ ; -- Begin function _ZN9rocsparseL44gtsv_nopivot_strided_batch_pcr_shared_kernelILj512EfEEviiiPKT0_S3_S3_PS1_
	.p2align	8
	.type	_ZN9rocsparseL44gtsv_nopivot_strided_batch_pcr_shared_kernelILj512EfEEviiiPKT0_S3_S3_PS1_,@function
_ZN9rocsparseL44gtsv_nopivot_strided_batch_pcr_shared_kernelILj512EfEEviiiPKT0_S3_S3_PS1_: ; @_ZN9rocsparseL44gtsv_nopivot_strided_batch_pcr_shared_kernelILj512EfEEviiiPKT0_S3_S3_PS1_
; %bb.0:
	s_load_dword s3, s[0:1], 0x8
	s_load_dword s8, s[0:1], 0x0
	v_mov_b32_e32 v4, 0
	v_mov_b32_e32 v5, 0
	s_waitcnt lgkmcnt(0)
	s_mul_i32 s4, s3, s2
	v_add_u32_e32 v2, s4, v0
	v_cmp_gt_i32_e64 s[2:3], s8, v0
	v_ashrrev_i32_e32 v3, 31, v2
	s_and_saveexec_b64 s[4:5], s[2:3]
	s_cbranch_execz .LBB16_2
; %bb.1:
	s_load_dwordx2 s[6:7], s[0:1], 0x10
	s_waitcnt lgkmcnt(0)
	v_lshl_add_u64 v[6:7], v[2:3], 2, s[6:7]
	global_load_dword v5, v[6:7], off
.LBB16_2:
	s_or_b64 exec, exec, s[4:5]
	v_lshlrev_b32_e32 v1, 2, v0
	s_waitcnt vmcnt(0)
	ds_write_b32 v1, v5
	s_and_saveexec_b64 s[4:5], s[2:3]
	s_cbranch_execz .LBB16_4
; %bb.3:
	s_load_dwordx2 s[6:7], s[0:1], 0x18
	s_waitcnt lgkmcnt(0)
	v_lshl_add_u64 v[4:5], v[2:3], 2, s[6:7]
	global_load_dword v4, v[4:5], off
.LBB16_4:
	s_or_b64 exec, exec, s[4:5]
	s_load_dwordx2 s[4:5], s[0:1], 0x28
	v_mov_b32_e32 v6, 0
	v_mov_b32_e32 v7, 0
	s_waitcnt vmcnt(0)
	ds_write_b32 v1, v4 offset:2048
	s_and_saveexec_b64 s[6:7], s[2:3]
	s_cbranch_execz .LBB16_6
; %bb.5:
	s_load_dwordx2 s[0:1], s[0:1], 0x20
	s_waitcnt lgkmcnt(0)
	v_lshl_add_u64 v[4:5], v[2:3], 2, s[0:1]
	global_load_dword v7, v[4:5], off
.LBB16_6:
	s_or_b64 exec, exec, s[6:7]
	v_or_b32_e32 v5, 0x800, v1
	v_or_b32_e32 v4, 0x1000, v1
	s_waitcnt vmcnt(0)
	ds_write_b32 v1, v7 offset:4096
	s_and_saveexec_b64 s[0:1], s[2:3]
	s_cbranch_execz .LBB16_8
; %bb.7:
	s_waitcnt lgkmcnt(0)
	v_lshl_add_u64 v[6:7], v[2:3], 2, s[4:5]
	global_load_dword v6, v[6:7], off
.LBB16_8:
	s_or_b64 exec, exec, s[0:1]
	s_waitcnt vmcnt(0)
	ds_write_b32 v1, v6 offset:8192
	v_sub_u32_e64 v6, v0, 1 clamp
	v_lshlrev_b32_e32 v10, 2, v6
	s_waitcnt lgkmcnt(0)
	s_barrier
	ds_read2st64_b32 v[6:7], v10 offset1:8
	ds_read_b32 v11, v1
	ds_read_b32 v14, v4
	;; [unrolled: 1-line block ×3, first 2 shown]
	ds_read_b32 v16, v1 offset:8192
	v_add_u32_e32 v8, 1, v0
	s_waitcnt lgkmcnt(3)
	v_div_scale_f32 v12, s[0:1], v7, v7, v11
	v_rcp_f32_e32 v13, v12
	s_add_i32 s0, s8, -1
	v_min_i32_e32 v8, s0, v8
	v_lshlrev_b32_e32 v19, 2, v8
	v_fma_f32 v9, -v12, v13, 1.0
	v_fmac_f32_e32 v13, v9, v13
	ds_read2st64_b32 v[8:9], v19 offset1:8
	v_div_scale_f32 v17, vcc, v11, v7, v11
	v_mul_f32_e32 v18, v17, v13
	v_fma_f32 v20, -v12, v18, v17
	v_fmac_f32_e32 v18, v20, v13
	v_fma_f32 v12, -v12, v18, v17
	s_waitcnt lgkmcnt(0)
	v_div_scale_f32 v17, s[6:7], v9, v9, v14
	v_rcp_f32_e32 v20, v17
	v_div_fmas_f32 v12, v12, v13, v18
	v_div_fixup_f32 v7, v12, v7, v11
	v_mul_f32_e64 v6, v7, -v6
	v_fma_f32 v11, -v17, v20, 1.0
	v_fmac_f32_e32 v20, v11, v20
	v_div_scale_f32 v11, vcc, v14, v9, v14
	v_mul_f32_e32 v12, v11, v20
	v_fma_f32 v13, -v17, v12, v11
	v_fmac_f32_e32 v12, v13, v20
	v_fma_f32 v13, -v17, v12, v11
	ds_read2st64_b32 v[10:11], v10 offset0:16 offset1:32
	v_div_fmas_f32 v17, v13, v20, v12
	ds_read2st64_b32 v[12:13], v19 offset0:16 offset1:32
	v_div_fixup_f32 v9, v17, v9, v14
	s_waitcnt lgkmcnt(0)
	v_fma_f32 v10, -v7, v10, v15
	v_fma_f32 v8, -v9, v8, v10
	v_fma_f32 v10, -v7, v11, v16
	v_fma_f32 v10, -v9, v13, v10
	v_mul_f32_e64 v7, v9, -v12
	s_barrier
	ds_write_b32 v5, v8
	ds_write_b32 v1, v10 offset:8192
	ds_write_b32 v1, v6
	ds_write_b32 v4, v7
	v_sub_u32_e64 v6, v0, 2 clamp
	v_lshlrev_b32_e32 v10, 2, v6
	s_waitcnt lgkmcnt(0)
	s_barrier
	ds_read2st64_b32 v[6:7], v10 offset1:8
	ds_read_b32 v11, v1
	ds_read_b32 v14, v1 offset:8192
	v_add_u32_e32 v8, 2, v0
	v_min_i32_e32 v8, s0, v8
	v_lshlrev_b32_e32 v19, 2, v8
	s_waitcnt lgkmcnt(1)
	v_div_scale_f32 v12, s[6:7], v7, v7, v11
	v_rcp_f32_e32 v13, v12
	ds_read_b32 v15, v4
	ds_read_b32 v16, v5
	v_div_scale_f32 v17, vcc, v11, v7, v11
	v_fma_f32 v9, -v12, v13, 1.0
	v_fmac_f32_e32 v13, v9, v13
	ds_read2st64_b32 v[8:9], v19 offset1:8
	v_mul_f32_e32 v18, v17, v13
	v_fma_f32 v20, -v12, v18, v17
	v_fmac_f32_e32 v18, v20, v13
	v_fma_f32 v12, -v12, v18, v17
	s_waitcnt lgkmcnt(0)
	v_div_scale_f32 v17, s[6:7], v9, v9, v15
	v_rcp_f32_e32 v20, v17
	v_div_fmas_f32 v12, v12, v13, v18
	v_div_fixup_f32 v7, v12, v7, v11
	v_mul_f32_e64 v6, v7, -v6
	v_fma_f32 v11, -v17, v20, 1.0
	v_fmac_f32_e32 v20, v11, v20
	v_div_scale_f32 v11, vcc, v15, v9, v15
	v_mul_f32_e32 v12, v11, v20
	v_fma_f32 v13, -v17, v12, v11
	v_fmac_f32_e32 v12, v13, v20
	v_fma_f32 v13, -v17, v12, v11
	ds_read2st64_b32 v[10:11], v10 offset0:16 offset1:32
	v_div_fmas_f32 v17, v13, v20, v12
	ds_read2st64_b32 v[12:13], v19 offset0:16 offset1:32
	v_div_fixup_f32 v9, v17, v9, v15
	s_waitcnt lgkmcnt(0)
	v_fma_f32 v10, -v7, v10, v16
	v_fma_f32 v8, -v9, v8, v10
	v_fma_f32 v10, -v7, v11, v14
	v_fma_f32 v10, -v9, v13, v10
	v_mul_f32_e64 v7, v9, -v12
	s_barrier
	ds_write_b32 v5, v8
	ds_write_b32 v1, v10 offset:8192
	ds_write_b32 v1, v6
	ds_write_b32 v4, v7
	v_sub_u32_e64 v6, v0, 4 clamp
	v_lshlrev_b32_e32 v10, 2, v6
	s_waitcnt lgkmcnt(0)
	s_barrier
	ds_read2st64_b32 v[6:7], v10 offset1:8
	ds_read_b32 v11, v1
	ds_read_b32 v14, v1 offset:8192
	v_add_u32_e32 v8, 4, v0
	v_min_i32_e32 v8, s0, v8
	v_lshlrev_b32_e32 v19, 2, v8
	s_waitcnt lgkmcnt(1)
	v_div_scale_f32 v12, s[6:7], v7, v7, v11
	v_rcp_f32_e32 v13, v12
	ds_read_b32 v15, v4
	ds_read_b32 v16, v5
	v_div_scale_f32 v17, vcc, v11, v7, v11
	v_fma_f32 v9, -v12, v13, 1.0
	v_fmac_f32_e32 v13, v9, v13
	ds_read2st64_b32 v[8:9], v19 offset1:8
	;; [unrolled: 51-line block ×6, first 2 shown]
	v_mul_f32_e32 v18, v17, v13
	v_fma_f32 v20, -v12, v18, v17
	v_fmac_f32_e32 v18, v20, v13
	v_fma_f32 v12, -v12, v18, v17
	s_waitcnt lgkmcnt(0)
	v_div_scale_f32 v17, s[6:7], v9, v9, v15
	v_rcp_f32_e32 v20, v17
	v_div_fmas_f32 v12, v12, v13, v18
	v_div_fixup_f32 v7, v12, v7, v11
	v_mul_f32_e64 v6, v7, -v6
	v_fma_f32 v11, -v17, v20, 1.0
	v_fmac_f32_e32 v20, v11, v20
	v_div_scale_f32 v11, vcc, v15, v9, v15
	v_mul_f32_e32 v12, v11, v20
	v_fma_f32 v13, -v17, v12, v11
	v_fmac_f32_e32 v12, v13, v20
	v_fma_f32 v13, -v17, v12, v11
	ds_read2st64_b32 v[10:11], v10 offset0:16 offset1:32
	v_div_fmas_f32 v17, v13, v20, v12
	ds_read2st64_b32 v[12:13], v19 offset0:16 offset1:32
	v_div_fixup_f32 v9, v17, v9, v15
	s_movk_i32 s1, 0x80
	s_waitcnt lgkmcnt(1)
	v_fma_f32 v10, -v7, v10, v16
	v_fma_f32 v8, -v9, v8, v10
	;; [unrolled: 1-line block ×3, first 2 shown]
	s_waitcnt lgkmcnt(0)
	v_fma_f32 v10, -v9, v13, v10
	v_mul_f32_e64 v7, v9, -v12
	s_barrier
	ds_write_b32 v5, v8
	ds_write_b32 v1, v10 offset:8192
	ds_write_b32 v1, v6
	ds_write_b32 v4, v7
	v_sub_u32_e64 v6, v0, s1 clamp
	v_lshlrev_b32_e32 v10, 2, v6
	s_waitcnt lgkmcnt(0)
	s_barrier
	ds_read2st64_b32 v[6:7], v10 offset1:8
	ds_read_b32 v11, v1
	ds_read_b32 v14, v1 offset:8192
	v_add_u32_e32 v8, 0x80, v0
	v_min_i32_e32 v8, s0, v8
	v_lshlrev_b32_e32 v19, 2, v8
	s_waitcnt lgkmcnt(1)
	v_div_scale_f32 v12, s[6:7], v7, v7, v11
	v_rcp_f32_e32 v13, v12
	ds_read_b32 v15, v4
	ds_read_b32 v16, v5
	v_div_scale_f32 v17, vcc, v11, v7, v11
	v_fma_f32 v9, -v12, v13, 1.0
	v_fmac_f32_e32 v13, v9, v13
	ds_read2st64_b32 v[8:9], v19 offset1:8
	v_mul_f32_e32 v18, v17, v13
	v_fma_f32 v20, -v12, v18, v17
	v_fmac_f32_e32 v18, v20, v13
	v_fma_f32 v12, -v12, v18, v17
	s_waitcnt lgkmcnt(0)
	v_div_scale_f32 v17, s[0:1], v9, v9, v15
	v_rcp_f32_e32 v20, v17
	v_div_fmas_f32 v12, v12, v13, v18
	v_div_fixup_f32 v7, v12, v7, v11
	s_movk_i32 s0, 0x100
	v_fma_f32 v11, -v17, v20, 1.0
	v_fmac_f32_e32 v20, v11, v20
	v_div_scale_f32 v11, vcc, v15, v9, v15
	v_mul_f32_e32 v12, v11, v20
	v_fma_f32 v13, -v17, v12, v11
	v_fmac_f32_e32 v12, v13, v20
	v_fma_f32 v13, -v17, v12, v11
	ds_read2st64_b32 v[10:11], v10 offset0:16 offset1:32
	v_div_fmas_f32 v17, v13, v20, v12
	ds_read2st64_b32 v[12:13], v19 offset0:16 offset1:32
	v_div_fixup_f32 v9, v17, v9, v15
	v_cmp_gt_u32_e32 vcc, s0, v0
	s_waitcnt lgkmcnt(1)
	v_fma_f32 v10, -v7, v10, v16
	v_fma_f32 v8, -v9, v8, v10
	v_fma_f32 v10, -v7, v11, v14
	s_waitcnt lgkmcnt(0)
	v_fma_f32 v10, -v9, v13, v10
	v_mul_f32_e64 v6, v7, -v6
	v_mul_f32_e64 v7, v9, -v12
	s_barrier
	ds_write_b32 v5, v8
	ds_write_b32 v1, v10 offset:8192
	ds_write_b32 v1, v6
	ds_write_b32 v4, v7
	s_waitcnt lgkmcnt(0)
	s_barrier
	s_and_saveexec_b64 s[0:1], vcc
	s_cbranch_execz .LBB16_14
; %bb.9:
	v_or_b32_e32 v6, 0x100, v0
	v_or_b32_e32 v7, 0x2000, v1
	v_cmp_le_i32_e32 vcc, s8, v6
                                        ; implicit-def: $vgpr8
	s_and_saveexec_b64 s[6:7], vcc
	s_xor_b64 s[6:7], exec, s[6:7]
	s_cbranch_execz .LBB16_11
; %bb.10:
	ds_read_b32 v4, v7
	ds_read_b32 v5, v5
	s_waitcnt lgkmcnt(0)
	v_div_scale_f32 v6, s[8:9], v5, v5, v4
	v_rcp_f32_e32 v7, v6
	v_div_scale_f32 v8, vcc, v4, v5, v4
	v_fma_f32 v9, -v6, v7, 1.0
	v_fmac_f32_e32 v7, v9, v7
	v_mul_f32_e32 v9, v8, v7
	v_fma_f32 v10, -v6, v9, v8
	v_fmac_f32_e32 v9, v10, v7
	v_fma_f32 v6, -v6, v9, v8
	v_div_fmas_f32 v6, v6, v7, v9
	v_div_fixup_f32 v8, v6, v5, v4
                                        ; implicit-def: $vgpr5
                                        ; implicit-def: $vgpr4
                                        ; implicit-def: $vgpr7
                                        ; implicit-def: $vgpr6
.LBB16_11:
	s_andn2_saveexec_b64 s[6:7], s[6:7]
	s_cbranch_execz .LBB16_13
; %bb.12:
	ds_read2st64_b32 v[8:9], v5 offset1:4
	ds_read_b32 v0, v1 offset:1024
	ds_read_b32 v5, v4
	s_waitcnt lgkmcnt(2)
	v_mov_b32_e32 v4, v9
	s_waitcnt lgkmcnt(1)
	v_mov_b32_e32 v9, v0
	s_waitcnt lgkmcnt(0)
	v_pk_mul_f32 v[10:11], v[4:5], v[8:9]
	s_nop 0
	v_sub_f32_e32 v0, v10, v11
	v_div_scale_f32 v12, s[8:9], v0, v0, 1.0
	v_rcp_f32_e32 v13, v12
	ds_read2st64_b32 v[10:11], v7 offset1:4
	v_div_scale_f32 v7, vcc, 1.0, v0, 1.0
	v_fma_f32 v14, -v12, v13, 1.0
	v_fmac_f32_e32 v13, v14, v13
	v_mul_f32_e32 v14, v7, v13
	v_fma_f32 v15, -v12, v14, v7
	v_fmac_f32_e32 v14, v15, v13
	v_fma_f32 v7, -v12, v14, v7
	v_div_fmas_f32 v7, v7, v13, v14
	s_waitcnt lgkmcnt(0)
	v_pk_mul_f32 v[4:5], v[4:5], v[10:11]
	v_div_fixup_f32 v0, v7, v0, 1.0
	v_sub_f32_e32 v4, v4, v5
	v_mul_f32_e32 v4, v0, v4
	ds_write_b32 v1, v4 offset:6144
	v_mov_b32_e32 v4, v11
	v_mov_b32_e32 v5, v10
	v_pk_mul_f32 v[4:5], v[8:9], v[4:5]
	s_nop 0
	v_sub_f32_e32 v4, v4, v5
	v_mul_f32_e32 v8, v0, v4
	v_mov_b32_e32 v0, v6
.LBB16_13:
	s_or_b64 exec, exec, s[6:7]
	v_lshlrev_b32_e32 v0, 2, v0
	ds_write_b32 v0, v8 offset:6144
.LBB16_14:
	s_or_b64 exec, exec, s[0:1]
	s_waitcnt lgkmcnt(0)
	s_barrier
	s_and_saveexec_b64 s[0:1], s[2:3]
	s_cbranch_execz .LBB16_16
; %bb.15:
	ds_read_b32 v4, v1 offset:6144
	v_lshl_add_u64 v[0:1], v[2:3], 2, s[4:5]
	s_waitcnt lgkmcnt(0)
	global_store_dword v[0:1], v4, off
.LBB16_16:
	s_endpgm
	.section	.rodata,"a",@progbits
	.p2align	6, 0x0
	.amdhsa_kernel _ZN9rocsparseL44gtsv_nopivot_strided_batch_pcr_shared_kernelILj512EfEEviiiPKT0_S3_S3_PS1_
		.amdhsa_group_segment_fixed_size 10240
		.amdhsa_private_segment_fixed_size 0
		.amdhsa_kernarg_size 48
		.amdhsa_user_sgpr_count 2
		.amdhsa_user_sgpr_dispatch_ptr 0
		.amdhsa_user_sgpr_queue_ptr 0
		.amdhsa_user_sgpr_kernarg_segment_ptr 1
		.amdhsa_user_sgpr_dispatch_id 0
		.amdhsa_user_sgpr_kernarg_preload_length 0
		.amdhsa_user_sgpr_kernarg_preload_offset 0
		.amdhsa_user_sgpr_private_segment_size 0
		.amdhsa_uses_dynamic_stack 0
		.amdhsa_enable_private_segment 0
		.amdhsa_system_sgpr_workgroup_id_x 1
		.amdhsa_system_sgpr_workgroup_id_y 0
		.amdhsa_system_sgpr_workgroup_id_z 0
		.amdhsa_system_sgpr_workgroup_info 0
		.amdhsa_system_vgpr_workitem_id 0
		.amdhsa_next_free_vgpr 21
		.amdhsa_next_free_sgpr 10
		.amdhsa_accum_offset 24
		.amdhsa_reserve_vcc 1
		.amdhsa_float_round_mode_32 0
		.amdhsa_float_round_mode_16_64 0
		.amdhsa_float_denorm_mode_32 3
		.amdhsa_float_denorm_mode_16_64 3
		.amdhsa_dx10_clamp 1
		.amdhsa_ieee_mode 1
		.amdhsa_fp16_overflow 0
		.amdhsa_tg_split 0
		.amdhsa_exception_fp_ieee_invalid_op 0
		.amdhsa_exception_fp_denorm_src 0
		.amdhsa_exception_fp_ieee_div_zero 0
		.amdhsa_exception_fp_ieee_overflow 0
		.amdhsa_exception_fp_ieee_underflow 0
		.amdhsa_exception_fp_ieee_inexact 0
		.amdhsa_exception_int_div_zero 0
	.end_amdhsa_kernel
	.section	.text._ZN9rocsparseL44gtsv_nopivot_strided_batch_pcr_shared_kernelILj512EfEEviiiPKT0_S3_S3_PS1_,"axG",@progbits,_ZN9rocsparseL44gtsv_nopivot_strided_batch_pcr_shared_kernelILj512EfEEviiiPKT0_S3_S3_PS1_,comdat
.Lfunc_end16:
	.size	_ZN9rocsparseL44gtsv_nopivot_strided_batch_pcr_shared_kernelILj512EfEEviiiPKT0_S3_S3_PS1_, .Lfunc_end16-_ZN9rocsparseL44gtsv_nopivot_strided_batch_pcr_shared_kernelILj512EfEEviiiPKT0_S3_S3_PS1_
                                        ; -- End function
	.set _ZN9rocsparseL44gtsv_nopivot_strided_batch_pcr_shared_kernelILj512EfEEviiiPKT0_S3_S3_PS1_.num_vgpr, 21
	.set _ZN9rocsparseL44gtsv_nopivot_strided_batch_pcr_shared_kernelILj512EfEEviiiPKT0_S3_S3_PS1_.num_agpr, 0
	.set _ZN9rocsparseL44gtsv_nopivot_strided_batch_pcr_shared_kernelILj512EfEEviiiPKT0_S3_S3_PS1_.numbered_sgpr, 10
	.set _ZN9rocsparseL44gtsv_nopivot_strided_batch_pcr_shared_kernelILj512EfEEviiiPKT0_S3_S3_PS1_.num_named_barrier, 0
	.set _ZN9rocsparseL44gtsv_nopivot_strided_batch_pcr_shared_kernelILj512EfEEviiiPKT0_S3_S3_PS1_.private_seg_size, 0
	.set _ZN9rocsparseL44gtsv_nopivot_strided_batch_pcr_shared_kernelILj512EfEEviiiPKT0_S3_S3_PS1_.uses_vcc, 1
	.set _ZN9rocsparseL44gtsv_nopivot_strided_batch_pcr_shared_kernelILj512EfEEviiiPKT0_S3_S3_PS1_.uses_flat_scratch, 0
	.set _ZN9rocsparseL44gtsv_nopivot_strided_batch_pcr_shared_kernelILj512EfEEviiiPKT0_S3_S3_PS1_.has_dyn_sized_stack, 0
	.set _ZN9rocsparseL44gtsv_nopivot_strided_batch_pcr_shared_kernelILj512EfEEviiiPKT0_S3_S3_PS1_.has_recursion, 0
	.set _ZN9rocsparseL44gtsv_nopivot_strided_batch_pcr_shared_kernelILj512EfEEviiiPKT0_S3_S3_PS1_.has_indirect_call, 0
	.section	.AMDGPU.csdata,"",@progbits
; Kernel info:
; codeLenInByte = 3416
; TotalNumSgprs: 16
; NumVgprs: 21
; NumAgprs: 0
; TotalNumVgprs: 21
; ScratchSize: 0
; MemoryBound: 0
; FloatMode: 240
; IeeeMode: 1
; LDSByteSize: 10240 bytes/workgroup (compile time only)
; SGPRBlocks: 1
; VGPRBlocks: 2
; NumSGPRsForWavesPerEU: 16
; NumVGPRsForWavesPerEU: 21
; AccumOffset: 24
; Occupancy: 8
; WaveLimiterHint : 0
; COMPUTE_PGM_RSRC2:SCRATCH_EN: 0
; COMPUTE_PGM_RSRC2:USER_SGPR: 2
; COMPUTE_PGM_RSRC2:TRAP_HANDLER: 0
; COMPUTE_PGM_RSRC2:TGID_X_EN: 1
; COMPUTE_PGM_RSRC2:TGID_Y_EN: 0
; COMPUTE_PGM_RSRC2:TGID_Z_EN: 0
; COMPUTE_PGM_RSRC2:TIDIG_COMP_CNT: 0
; COMPUTE_PGM_RSRC3_GFX90A:ACCUM_OFFSET: 5
; COMPUTE_PGM_RSRC3_GFX90A:TG_SPLIT: 0
	.section	.text._ZN9rocsparseL49gtsv_nopivot_strided_batch_pcr_pow2_stage1_kernelILj256EfEEviiiiPKT0_S3_S3_S3_PS1_S4_S4_S4_,"axG",@progbits,_ZN9rocsparseL49gtsv_nopivot_strided_batch_pcr_pow2_stage1_kernelILj256EfEEviiiiPKT0_S3_S3_S3_PS1_S4_S4_S4_,comdat
	.globl	_ZN9rocsparseL49gtsv_nopivot_strided_batch_pcr_pow2_stage1_kernelILj256EfEEviiiiPKT0_S3_S3_S3_PS1_S4_S4_S4_ ; -- Begin function _ZN9rocsparseL49gtsv_nopivot_strided_batch_pcr_pow2_stage1_kernelILj256EfEEviiiiPKT0_S3_S3_S3_PS1_S4_S4_S4_
	.p2align	8
	.type	_ZN9rocsparseL49gtsv_nopivot_strided_batch_pcr_pow2_stage1_kernelILj256EfEEviiiiPKT0_S3_S3_S3_PS1_S4_S4_S4_,@function
_ZN9rocsparseL49gtsv_nopivot_strided_batch_pcr_pow2_stage1_kernelILj256EfEEviiiiPKT0_S3_S3_S3_PS1_S4_S4_S4_: ; @_ZN9rocsparseL49gtsv_nopivot_strided_batch_pcr_pow2_stage1_kernelILj256EfEEviiiiPKT0_S3_S3_S3_PS1_S4_S4_S4_
; %bb.0:
	s_load_dwordx2 s[20:21], s[0:1], 0x0
	s_load_dwordx8 s[12:19], s[0:1], 0x30
	s_load_dword s24, s[0:1], 0xc
	s_load_dwordx8 s[4:11], s[0:1], 0x10
	v_lshl_or_b32 v0, s2, 8, v0
	s_waitcnt lgkmcnt(0)
	v_add_u32_e32 v1, s20, v0
	s_add_i32 s0, s21, -1
	v_min_i32_e32 v2, s0, v1
	s_mul_i32 s0, s21, s3
	s_ashr_i32 s1, s0, 31
	s_lshl_b64 s[22:23], s[0:1], 2
	s_add_u32 s0, s18, s22
	s_mul_i32 s2, s24, s3
	s_addc_u32 s1, s19, s23
	s_ashr_i32 s3, s2, 31
	s_lshl_b64 s[18:19], s[2:3], 2
	s_add_u32 s10, s10, s18
	s_addc_u32 s11, s11, s19
	s_add_u32 s2, s16, s22
	s_addc_u32 s3, s17, s23
	;; [unrolled: 2-line block ×5, first 2 shown]
	v_subrev_u32_e32 v1, s20, v0
	s_add_u32 s6, s12, s22
	v_max_i32_e32 v4, 0, v1
	v_ashrrev_i32_e32 v1, 31, v0
	s_addc_u32 s7, s13, s23
	v_lshlrev_b64 v[0:1], 2, v[0:1]
	v_ashrrev_i32_e32 v3, 31, v2
	s_add_u32 s4, s4, s18
	v_lshl_add_u64 v[8:9], s[16:17], 0, v[0:1]
	v_lshlrev_b64 v[2:3], 2, v[2:3]
	s_addc_u32 s5, s5, s19
	global_load_dword v14, v[8:9], off
	v_lshl_add_u64 v[8:9], s[14:15], 0, v[2:3]
	v_mov_b32_e32 v5, 0
	v_lshl_add_u64 v[6:7], s[4:5], 0, v[0:1]
	global_load_dword v15, v[8:9], off
	global_load_dword v16, v[6:7], off
	v_lshlrev_b64 v[4:5], 2, v[4:5]
	v_lshl_add_u64 v[6:7], s[14:15], 0, v[4:5]
	global_load_dword v17, v[6:7], off
	v_lshl_add_u64 v[6:7], s[10:11], 0, v[2:3]
	v_lshl_add_u64 v[8:9], s[10:11], 0, v[4:5]
	global_load_dword v11, v[6:7], off
	global_load_dword v10, v[8:9], off
	v_lshl_add_u64 v[8:9], s[16:17], 0, v[4:5]
	global_load_dword v8, v[8:9], off
	v_lshl_add_u64 v[12:13], s[4:5], 0, v[2:3]
	v_lshl_add_u64 v[4:5], s[4:5], 0, v[4:5]
	;; [unrolled: 1-line block ×4, first 2 shown]
	global_load_dword v18, v[4:5], off
	global_load_dword v9, v[12:13], off
	;; [unrolled: 1-line block ×4, first 2 shown]
	v_lshl_add_u64 v[2:3], s[10:11], 0, v[0:1]
	global_load_dword v21, v[2:3], off
	v_lshl_add_u64 v[2:3], s[0:1], 0, v[0:1]
	v_lshl_add_u64 v[4:5], s[2:3], 0, v[0:1]
	;; [unrolled: 1-line block ×4, first 2 shown]
	s_waitcnt vmcnt(10)
	v_div_scale_f32 v12, s[0:1], v15, v15, v14
	v_rcp_f32_e32 v22, v12
	v_div_scale_f32 v13, s[0:1], v14, v15, v14
	s_waitcnt vmcnt(8)
	v_div_scale_f32 v23, s[2:3], v17, v17, v16
	v_rcp_f32_e32 v25, v23
	v_fma_f32 v26, -v12, v22, 1.0
	v_fmac_f32_e32 v22, v26, v22
	v_mul_f32_e32 v26, v13, v22
	v_fma_f32 v27, -v12, v26, v13
	v_fma_f32 v28, -v23, v25, 1.0
	v_div_scale_f32 v24, vcc, v16, v17, v16
	v_fmac_f32_e32 v26, v27, v22
	v_fmac_f32_e32 v25, v28, v25
	v_fma_f32 v13, -v12, v26, v13
	v_mul_f32_e32 v12, v24, v25
	v_fma_f32 v27, -v23, v12, v24
	v_fmac_f32_e32 v12, v27, v25
	v_fma_f32 v23, -v23, v12, v24
	v_div_fmas_f32 v12, v23, v25, v12
	s_mov_b64 vcc, s[0:1]
	v_div_fmas_f32 v13, v13, v22, v26
	v_div_fixup_f32 v12, v12, v17, v16
	v_div_fixup_f32 v13, v13, v15, v14
	s_waitcnt vmcnt(4)
	v_mul_f32_e64 v14, v12, -v18
	s_waitcnt vmcnt(3)
	v_pk_mul_f32 v[8:9], v[12:13], v[8:9]
	v_pk_mul_f32 v[10:11], v[12:13], v[10:11]
	global_store_dword v[0:1], v14, off
	s_waitcnt vmcnt(3)
	v_sub_f32_e32 v1, v19, v8
	s_waitcnt vmcnt(1)
	v_sub_f32_e32 v8, v21, v10
	v_sub_f32_e32 v1, v1, v9
	v_mul_f32_e64 v0, v13, -v20
	v_sub_f32_e32 v8, v8, v11
	global_store_dword v[6:7], v1, off
	global_store_dword v[2:3], v8, off
	;; [unrolled: 1-line block ×3, first 2 shown]
	s_endpgm
	.section	.rodata,"a",@progbits
	.p2align	6, 0x0
	.amdhsa_kernel _ZN9rocsparseL49gtsv_nopivot_strided_batch_pcr_pow2_stage1_kernelILj256EfEEviiiiPKT0_S3_S3_S3_PS1_S4_S4_S4_
		.amdhsa_group_segment_fixed_size 0
		.amdhsa_private_segment_fixed_size 0
		.amdhsa_kernarg_size 80
		.amdhsa_user_sgpr_count 2
		.amdhsa_user_sgpr_dispatch_ptr 0
		.amdhsa_user_sgpr_queue_ptr 0
		.amdhsa_user_sgpr_kernarg_segment_ptr 1
		.amdhsa_user_sgpr_dispatch_id 0
		.amdhsa_user_sgpr_kernarg_preload_length 0
		.amdhsa_user_sgpr_kernarg_preload_offset 0
		.amdhsa_user_sgpr_private_segment_size 0
		.amdhsa_uses_dynamic_stack 0
		.amdhsa_enable_private_segment 0
		.amdhsa_system_sgpr_workgroup_id_x 1
		.amdhsa_system_sgpr_workgroup_id_y 1
		.amdhsa_system_sgpr_workgroup_id_z 0
		.amdhsa_system_sgpr_workgroup_info 0
		.amdhsa_system_vgpr_workitem_id 0
		.amdhsa_next_free_vgpr 29
		.amdhsa_next_free_sgpr 25
		.amdhsa_accum_offset 32
		.amdhsa_reserve_vcc 1
		.amdhsa_float_round_mode_32 0
		.amdhsa_float_round_mode_16_64 0
		.amdhsa_float_denorm_mode_32 3
		.amdhsa_float_denorm_mode_16_64 3
		.amdhsa_dx10_clamp 1
		.amdhsa_ieee_mode 1
		.amdhsa_fp16_overflow 0
		.amdhsa_tg_split 0
		.amdhsa_exception_fp_ieee_invalid_op 0
		.amdhsa_exception_fp_denorm_src 0
		.amdhsa_exception_fp_ieee_div_zero 0
		.amdhsa_exception_fp_ieee_overflow 0
		.amdhsa_exception_fp_ieee_underflow 0
		.amdhsa_exception_fp_ieee_inexact 0
		.amdhsa_exception_int_div_zero 0
	.end_amdhsa_kernel
	.section	.text._ZN9rocsparseL49gtsv_nopivot_strided_batch_pcr_pow2_stage1_kernelILj256EfEEviiiiPKT0_S3_S3_S3_PS1_S4_S4_S4_,"axG",@progbits,_ZN9rocsparseL49gtsv_nopivot_strided_batch_pcr_pow2_stage1_kernelILj256EfEEviiiiPKT0_S3_S3_S3_PS1_S4_S4_S4_,comdat
.Lfunc_end17:
	.size	_ZN9rocsparseL49gtsv_nopivot_strided_batch_pcr_pow2_stage1_kernelILj256EfEEviiiiPKT0_S3_S3_S3_PS1_S4_S4_S4_, .Lfunc_end17-_ZN9rocsparseL49gtsv_nopivot_strided_batch_pcr_pow2_stage1_kernelILj256EfEEviiiiPKT0_S3_S3_S3_PS1_S4_S4_S4_
                                        ; -- End function
	.set _ZN9rocsparseL49gtsv_nopivot_strided_batch_pcr_pow2_stage1_kernelILj256EfEEviiiiPKT0_S3_S3_S3_PS1_S4_S4_S4_.num_vgpr, 29
	.set _ZN9rocsparseL49gtsv_nopivot_strided_batch_pcr_pow2_stage1_kernelILj256EfEEviiiiPKT0_S3_S3_S3_PS1_S4_S4_S4_.num_agpr, 0
	.set _ZN9rocsparseL49gtsv_nopivot_strided_batch_pcr_pow2_stage1_kernelILj256EfEEviiiiPKT0_S3_S3_S3_PS1_S4_S4_S4_.numbered_sgpr, 25
	.set _ZN9rocsparseL49gtsv_nopivot_strided_batch_pcr_pow2_stage1_kernelILj256EfEEviiiiPKT0_S3_S3_S3_PS1_S4_S4_S4_.num_named_barrier, 0
	.set _ZN9rocsparseL49gtsv_nopivot_strided_batch_pcr_pow2_stage1_kernelILj256EfEEviiiiPKT0_S3_S3_S3_PS1_S4_S4_S4_.private_seg_size, 0
	.set _ZN9rocsparseL49gtsv_nopivot_strided_batch_pcr_pow2_stage1_kernelILj256EfEEviiiiPKT0_S3_S3_S3_PS1_S4_S4_S4_.uses_vcc, 1
	.set _ZN9rocsparseL49gtsv_nopivot_strided_batch_pcr_pow2_stage1_kernelILj256EfEEviiiiPKT0_S3_S3_S3_PS1_S4_S4_S4_.uses_flat_scratch, 0
	.set _ZN9rocsparseL49gtsv_nopivot_strided_batch_pcr_pow2_stage1_kernelILj256EfEEviiiiPKT0_S3_S3_S3_PS1_S4_S4_S4_.has_dyn_sized_stack, 0
	.set _ZN9rocsparseL49gtsv_nopivot_strided_batch_pcr_pow2_stage1_kernelILj256EfEEviiiiPKT0_S3_S3_S3_PS1_S4_S4_S4_.has_recursion, 0
	.set _ZN9rocsparseL49gtsv_nopivot_strided_batch_pcr_pow2_stage1_kernelILj256EfEEviiiiPKT0_S3_S3_S3_PS1_S4_S4_S4_.has_indirect_call, 0
	.section	.AMDGPU.csdata,"",@progbits
; Kernel info:
; codeLenInByte = 668
; TotalNumSgprs: 31
; NumVgprs: 29
; NumAgprs: 0
; TotalNumVgprs: 29
; ScratchSize: 0
; MemoryBound: 0
; FloatMode: 240
; IeeeMode: 1
; LDSByteSize: 0 bytes/workgroup (compile time only)
; SGPRBlocks: 3
; VGPRBlocks: 3
; NumSGPRsForWavesPerEU: 31
; NumVGPRsForWavesPerEU: 29
; AccumOffset: 32
; Occupancy: 8
; WaveLimiterHint : 0
; COMPUTE_PGM_RSRC2:SCRATCH_EN: 0
; COMPUTE_PGM_RSRC2:USER_SGPR: 2
; COMPUTE_PGM_RSRC2:TRAP_HANDLER: 0
; COMPUTE_PGM_RSRC2:TGID_X_EN: 1
; COMPUTE_PGM_RSRC2:TGID_Y_EN: 1
; COMPUTE_PGM_RSRC2:TGID_Z_EN: 0
; COMPUTE_PGM_RSRC2:TIDIG_COMP_CNT: 0
; COMPUTE_PGM_RSRC3_GFX90A:ACCUM_OFFSET: 7
; COMPUTE_PGM_RSRC3_GFX90A:TG_SPLIT: 0
	.section	.text._ZN9rocsparseL48gtsv_nopivot_strided_batch_cr_pow2_stage2_kernelILj256EfEEviiiPKT0_S3_S3_S3_PS1_,"axG",@progbits,_ZN9rocsparseL48gtsv_nopivot_strided_batch_cr_pow2_stage2_kernelILj256EfEEviiiPKT0_S3_S3_S3_PS1_,comdat
	.globl	_ZN9rocsparseL48gtsv_nopivot_strided_batch_cr_pow2_stage2_kernelILj256EfEEviiiPKT0_S3_S3_S3_PS1_ ; -- Begin function _ZN9rocsparseL48gtsv_nopivot_strided_batch_cr_pow2_stage2_kernelILj256EfEEviiiPKT0_S3_S3_S3_PS1_
	.p2align	8
	.type	_ZN9rocsparseL48gtsv_nopivot_strided_batch_cr_pow2_stage2_kernelILj256EfEEviiiPKT0_S3_S3_S3_PS1_,@function
_ZN9rocsparseL48gtsv_nopivot_strided_batch_cr_pow2_stage2_kernelILj256EfEEviiiPKT0_S3_S3_S3_PS1_: ; @_ZN9rocsparseL48gtsv_nopivot_strided_batch_cr_pow2_stage2_kernelILj256EfEEviiiPKT0_S3_S3_S3_PS1_
; %bb.0:
	s_load_dword s12, s[0:1], 0x38
	s_load_dword s13, s[0:1], 0x0
	s_load_dwordx8 s[4:11], s[0:1], 0x10
	v_mov_b32_e32 v5, 0
	s_waitcnt lgkmcnt(0)
	v_mul_lo_u32 v1, s12, v0
	v_add_u32_e32 v1, s2, v1
	s_mul_i32 s13, s13, s3
	v_add_u32_e32 v4, s13, v1
	v_lshlrev_b64 v[2:3], 2, v[4:5]
	v_lshl_add_u64 v[6:7], s[4:5], 0, v[2:3]
	global_load_dword v10, v[6:7], off
	v_lshl_add_u64 v[6:7], s[6:7], 0, v[2:3]
	global_load_dword v11, v[6:7], off
	v_lshl_add_u64 v[6:7], s[8:9], 0, v[2:3]
	v_lshl_add_u64 v[2:3], s[10:11], 0, v[2:3]
	global_load_dword v13, v[2:3], off
	v_lshl_add_u32 v2, s12, 8, v1
	v_add_u32_e32 v4, s13, v2
	global_load_dword v12, v[6:7], off
	v_lshlrev_b64 v[6:7], 2, v[4:5]
	v_lshl_add_u64 v[8:9], s[4:5], 0, v[6:7]
	global_load_dword v14, v[8:9], off
	v_lshl_add_u64 v[8:9], s[6:7], 0, v[6:7]
	global_load_dword v15, v[8:9], off
	;; [unrolled: 2-line block ×4, first 2 shown]
	s_movk_i32 s2, 0x100
	v_lshlrev_b32_e32 v3, 2, v0
	v_add_u32_e32 v4, 1, v0
	v_cmp_gt_u32_e64 s[20:21], s2, v0
	ds_write2st64_b32 v3, v5, v5 offset0:24 offset1:28
	s_waitcnt vmcnt(3)
	ds_write2st64_b32 v3, v10, v14 offset1:4
	s_waitcnt vmcnt(2)
	ds_write2st64_b32 v3, v11, v15 offset0:8 offset1:12
	s_waitcnt vmcnt(1)
	ds_write2st64_b32 v3, v12, v8 offset0:16 offset1:20
	;; [unrolled: 2-line block ×3, first 2 shown]
	s_waitcnt lgkmcnt(0)
	s_barrier
	s_and_saveexec_b64 s[4:5], s[20:21]
	s_cbranch_execz .LBB18_2
; %bb.1:
	v_lshlrev_b32_e32 v5, 1, v4
	v_lshlrev_b32_e32 v18, 3, v4
	v_min_u32_e32 v5, 0x1ff, v5
	v_add_u32_e32 v6, 0x1f8, v18
	v_lshlrev_b32_e32 v5, 2, v5
	ds_read2st64_b64 v[6:9], v6 offset0:3 offset1:7
	ds_read2st64_b32 v[10:11], v5 offset1:8
	v_add_u32_e32 v12, -8, v18
	ds_read_b64 v[12:13], v12
	v_add_u32_e32 v19, -4, v18
	s_waitcnt lgkmcnt(1)
	v_div_scale_f32 v14, s[6:7], v11, v11, v9
	v_rcp_f32_e32 v16, v14
	s_nop 0
	v_fma_f32 v15, -v14, v16, 1.0
	v_fmac_f32_e32 v16, v15, v16
	v_div_scale_f32 v15, vcc, v9, v11, v9
	v_mul_f32_e32 v17, v15, v16
	v_fma_f32 v20, -v14, v17, v15
	v_fmac_f32_e32 v17, v20, v16
	v_fma_f32 v20, -v14, v17, v15
	ds_read_b64 v[14:15], v18 offset:8184
	s_waitcnt lgkmcnt(1)
	v_div_scale_f32 v21, s[6:7], v6, v6, v13
	v_rcp_f32_e32 v22, v21
	v_div_fmas_f32 v16, v20, v16, v17
	v_div_fixup_f32 v17, v16, v11, v9
	v_fma_f32 v9, -v21, v22, 1.0
	v_fmac_f32_e32 v22, v9, v22
	v_div_scale_f32 v9, vcc, v13, v6, v13
	v_mul_f32_e32 v11, v9, v22
	v_fma_f32 v16, -v21, v11, v9
	v_fmac_f32_e32 v11, v16, v22
	v_fma_f32 v9, -v21, v11, v9
	v_div_fmas_f32 v9, v9, v22, v11
	v_div_fixup_f32 v16, v9, v6, v13
	v_mov_b32_e32 v9, v10
	ds_read2st64_b32 v[10:11], v5 offset0:16 offset1:32
	v_pk_mul_f32 v[8:9], v[16:17], v[8:9]
	s_waitcnt lgkmcnt(1)
	v_mov_b32_e32 v6, v14
	v_sub_f32_e32 v5, v7, v8
	v_sub_f32_e32 v5, v5, v9
	s_waitcnt lgkmcnt(0)
	v_mov_b32_e32 v7, v11
	v_pk_mul_f32 v[6:7], v[16:17], v[6:7]
	s_nop 0
	v_sub_f32_e32 v6, v15, v6
	v_sub_f32_e32 v6, v6, v7
	ds_write_b32 v18, v6 offset:8188
	v_mul_f32_e64 v6, v16, -v12
	ds_write_b32 v19, v6
	v_mul_f32_e64 v6, v17, -v10
	v_add_u32_e32 v7, 0xfc, v18
	ds_write2st64_b32 v7, v5, v6 offset0:7 offset1:15
.LBB18_2:
	s_or_b64 exec, exec, s[4:5]
	s_movk_i32 s2, 0x80
	v_cmp_gt_u32_e64 s[4:5], s2, v0
	s_waitcnt lgkmcnt(0)
	s_barrier
	s_and_saveexec_b64 s[6:7], s[4:5]
	s_cbranch_execz .LBB18_4
; %bb.3:
	v_lshlrev_b32_e32 v5, 4, v4
	v_lshl_or_b32 v6, v4, 2, 1
	v_min_u32_e32 v10, 0x1ff, v6
	v_add_u32_e32 v16, -4, v5
	v_add_u32_e32 v6, 0x400, v5
	ds_read_b32 v12, v16
	ds_read2_b32 v[6:7], v6 offset0:253 offset1:255
	v_add_u32_e32 v8, -12, v5
	ds_read_b32 v17, v8
	v_add_u32_e32 v9, 0xc00, v5
	v_lshlrev_b32_e32 v15, 2, v10
	s_waitcnt lgkmcnt(1)
	v_div_scale_f32 v13, s[8:9], v6, v6, v12
	v_rcp_f32_e32 v14, v13
	ds_read2_b32 v[8:9], v9 offset0:253 offset1:255
	ds_read2st64_b32 v[10:11], v15 offset1:8
	v_fma_f32 v18, -v13, v14, 1.0
	v_fmac_f32_e32 v14, v18, v14
	v_div_scale_f32 v18, vcc, v12, v6, v12
	v_mul_f32_e32 v19, v18, v14
	v_fma_f32 v20, -v13, v19, v18
	v_fmac_f32_e32 v19, v20, v14
	v_fma_f32 v13, -v13, v19, v18
	s_waitcnt lgkmcnt(0)
	v_div_scale_f32 v18, s[8:9], v11, v11, v9
	v_rcp_f32_e32 v20, v18
	v_div_fmas_f32 v13, v13, v14, v19
	v_div_fixup_f32 v12, v13, v6, v12
	v_fma_f32 v6, -v18, v20, 1.0
	v_fmac_f32_e32 v20, v6, v20
	v_div_scale_f32 v6, vcc, v9, v11, v9
	v_mul_f32_e32 v13, v6, v20
	v_fma_f32 v14, -v18, v13, v6
	v_fmac_f32_e32 v13, v14, v20
	v_fma_f32 v6, -v18, v13, v6
	v_div_fmas_f32 v6, v6, v20, v13
	v_div_fixup_f32 v13, v6, v11, v9
	v_add_u32_e32 v6, 0x1c00, v5
	v_mov_b32_e32 v9, v10
	ds_read2_b32 v[10:11], v6 offset0:253 offset1:255
	ds_read2st64_b32 v[14:15], v15 offset0:16 offset1:32
	v_pk_mul_f32 v[8:9], v[12:13], v[8:9]
	s_nop 0
	v_sub_f32_e32 v6, v7, v8
	v_sub_f32_e32 v8, v6, v9
	s_waitcnt lgkmcnt(1)
	v_mov_b32_e32 v6, v10
	s_waitcnt lgkmcnt(0)
	v_mov_b32_e32 v7, v15
	v_pk_mul_f32 v[6:7], v[12:13], v[6:7]
	s_nop 0
	v_sub_f32_e32 v6, v11, v6
	v_sub_f32_e32 v6, v6, v7
	ds_write_b32 v5, v6 offset:8188
	v_mul_f32_e64 v6, v12, -v17
	ds_write_b32 v16, v6
	v_mul_f32_e64 v6, v13, -v14
	v_add_u32_e32 v5, 0xfc, v5
	ds_write2st64_b32 v5, v8, v6 offset0:7 offset1:15
.LBB18_4:
	s_or_b64 exec, exec, s[6:7]
	v_cmp_gt_u32_e64 s[6:7], 64, v0
	s_waitcnt lgkmcnt(0)
	s_barrier
	s_and_saveexec_b64 s[8:9], s[6:7]
	s_cbranch_execz .LBB18_6
; %bb.5:
	v_lshlrev_b32_e32 v5, 5, v4
	v_lshl_or_b32 v6, v4, 3, 3
	v_min_u32_e32 v10, 0x1ff, v6
	v_add_u32_e32 v16, -4, v5
	v_add_u32_e32 v6, 0x400, v5
	ds_read_b32 v12, v16
	ds_read2_b32 v[6:7], v6 offset0:251 offset1:255
	v_subrev_u32_e32 v8, 20, v5
	ds_read_b32 v17, v8
	v_add_u32_e32 v9, 0xc00, v5
	v_lshlrev_b32_e32 v15, 2, v10
	s_waitcnt lgkmcnt(1)
	v_div_scale_f32 v13, s[10:11], v6, v6, v12
	v_rcp_f32_e32 v14, v13
	ds_read2_b32 v[8:9], v9 offset0:251 offset1:255
	ds_read2st64_b32 v[10:11], v15 offset1:8
	v_fma_f32 v18, -v13, v14, 1.0
	v_fmac_f32_e32 v14, v18, v14
	v_div_scale_f32 v18, vcc, v12, v6, v12
	v_mul_f32_e32 v19, v18, v14
	v_fma_f32 v20, -v13, v19, v18
	v_fmac_f32_e32 v19, v20, v14
	v_fma_f32 v13, -v13, v19, v18
	s_waitcnt lgkmcnt(0)
	v_div_scale_f32 v18, s[10:11], v11, v11, v9
	v_rcp_f32_e32 v20, v18
	v_div_fmas_f32 v13, v13, v14, v19
	v_div_fixup_f32 v12, v13, v6, v12
	v_fma_f32 v6, -v18, v20, 1.0
	v_fmac_f32_e32 v20, v6, v20
	v_div_scale_f32 v6, vcc, v9, v11, v9
	v_mul_f32_e32 v13, v6, v20
	v_fma_f32 v14, -v18, v13, v6
	v_fmac_f32_e32 v13, v14, v20
	v_fma_f32 v6, -v18, v13, v6
	v_div_fmas_f32 v6, v6, v20, v13
	v_div_fixup_f32 v13, v6, v11, v9
	v_add_u32_e32 v6, 0x1c00, v5
	v_mov_b32_e32 v9, v10
	ds_read2_b32 v[10:11], v6 offset0:251 offset1:255
	ds_read2st64_b32 v[14:15], v15 offset0:16 offset1:32
	v_pk_mul_f32 v[8:9], v[12:13], v[8:9]
	s_nop 0
	v_sub_f32_e32 v6, v7, v8
	v_sub_f32_e32 v8, v6, v9
	s_waitcnt lgkmcnt(1)
	v_mov_b32_e32 v6, v10
	s_waitcnt lgkmcnt(0)
	v_mov_b32_e32 v7, v15
	v_pk_mul_f32 v[6:7], v[12:13], v[6:7]
	s_nop 0
	v_sub_f32_e32 v6, v11, v6
	v_sub_f32_e32 v6, v6, v7
	ds_write_b32 v5, v6 offset:8188
	v_mul_f32_e64 v6, v12, -v17
	ds_write_b32 v16, v6
	v_mul_f32_e64 v6, v13, -v14
	v_add_u32_e32 v5, 0xfc, v5
	ds_write2st64_b32 v5, v8, v6 offset0:7 offset1:15
.LBB18_6:
	s_or_b64 exec, exec, s[8:9]
	v_cmp_gt_u32_e64 s[8:9], 32, v0
	s_waitcnt lgkmcnt(0)
	s_barrier
	s_and_saveexec_b64 s[10:11], s[8:9]
	s_cbranch_execz .LBB18_8
; %bb.7:
	v_lshlrev_b32_e32 v5, 6, v4
	v_lshl_or_b32 v6, v4, 4, 7
	v_min_u32_e32 v10, 0x1ff, v6
	v_add_u32_e32 v16, -4, v5
	v_add_u32_e32 v6, 0x400, v5
	ds_read_b32 v12, v16
	ds_read2_b32 v[6:7], v6 offset0:247 offset1:255
	v_subrev_u32_e32 v8, 36, v5
	ds_read_b32 v17, v8
	v_add_u32_e32 v9, 0xc00, v5
	v_lshlrev_b32_e32 v15, 2, v10
	s_waitcnt lgkmcnt(1)
	v_div_scale_f32 v13, s[12:13], v6, v6, v12
	v_rcp_f32_e32 v14, v13
	ds_read2_b32 v[8:9], v9 offset0:247 offset1:255
	ds_read2st64_b32 v[10:11], v15 offset1:8
	v_fma_f32 v18, -v13, v14, 1.0
	v_fmac_f32_e32 v14, v18, v14
	v_div_scale_f32 v18, vcc, v12, v6, v12
	v_mul_f32_e32 v19, v18, v14
	v_fma_f32 v20, -v13, v19, v18
	v_fmac_f32_e32 v19, v20, v14
	v_fma_f32 v13, -v13, v19, v18
	s_waitcnt lgkmcnt(0)
	v_div_scale_f32 v18, s[12:13], v11, v11, v9
	v_rcp_f32_e32 v20, v18
	v_div_fmas_f32 v13, v13, v14, v19
	v_div_fixup_f32 v12, v13, v6, v12
	v_fma_f32 v6, -v18, v20, 1.0
	v_fmac_f32_e32 v20, v6, v20
	v_div_scale_f32 v6, vcc, v9, v11, v9
	v_mul_f32_e32 v13, v6, v20
	v_fma_f32 v14, -v18, v13, v6
	v_fmac_f32_e32 v13, v14, v20
	v_fma_f32 v6, -v18, v13, v6
	v_div_fmas_f32 v6, v6, v20, v13
	v_div_fixup_f32 v13, v6, v11, v9
	v_add_u32_e32 v6, 0x1c00, v5
	v_mov_b32_e32 v9, v10
	ds_read2_b32 v[10:11], v6 offset0:247 offset1:255
	ds_read2st64_b32 v[14:15], v15 offset0:16 offset1:32
	v_pk_mul_f32 v[8:9], v[12:13], v[8:9]
	s_nop 0
	v_sub_f32_e32 v6, v7, v8
	v_sub_f32_e32 v8, v6, v9
	s_waitcnt lgkmcnt(1)
	v_mov_b32_e32 v6, v10
	s_waitcnt lgkmcnt(0)
	v_mov_b32_e32 v7, v15
	v_pk_mul_f32 v[6:7], v[12:13], v[6:7]
	s_nop 0
	v_sub_f32_e32 v6, v11, v6
	v_sub_f32_e32 v6, v6, v7
	ds_write_b32 v5, v6 offset:8188
	v_mul_f32_e64 v6, v12, -v17
	ds_write_b32 v16, v6
	v_mul_f32_e64 v6, v13, -v14
	v_add_u32_e32 v5, 0xfc, v5
	ds_write2st64_b32 v5, v8, v6 offset0:7 offset1:15
.LBB18_8:
	s_or_b64 exec, exec, s[10:11]
	v_cmp_gt_u32_e64 s[10:11], 16, v0
	s_waitcnt lgkmcnt(0)
	s_barrier
	s_and_saveexec_b64 s[12:13], s[10:11]
	s_cbranch_execz .LBB18_10
; %bb.9:
	v_lshlrev_b32_e32 v5, 7, v4
	v_lshl_or_b32 v6, v4, 5, 15
	v_min_u32_e32 v10, 0x1ff, v6
	v_add_u32_e32 v16, -4, v5
	v_add_u32_e32 v6, 0x400, v5
	ds_read_b32 v12, v16
	ds_read2_b32 v[6:7], v6 offset0:239 offset1:255
	v_add_u32_e32 v8, 0xffffffbc, v5
	ds_read_b32 v17, v8
	v_add_u32_e32 v9, 0xc00, v5
	v_lshlrev_b32_e32 v15, 2, v10
	s_waitcnt lgkmcnt(1)
	v_div_scale_f32 v13, s[14:15], v6, v6, v12
	v_rcp_f32_e32 v14, v13
	ds_read2_b32 v[8:9], v9 offset0:239 offset1:255
	ds_read2st64_b32 v[10:11], v15 offset1:8
	v_fma_f32 v18, -v13, v14, 1.0
	v_fmac_f32_e32 v14, v18, v14
	v_div_scale_f32 v18, vcc, v12, v6, v12
	v_mul_f32_e32 v19, v18, v14
	v_fma_f32 v20, -v13, v19, v18
	v_fmac_f32_e32 v19, v20, v14
	v_fma_f32 v13, -v13, v19, v18
	s_waitcnt lgkmcnt(0)
	v_div_scale_f32 v18, s[14:15], v11, v11, v9
	v_rcp_f32_e32 v20, v18
	v_div_fmas_f32 v13, v13, v14, v19
	v_div_fixup_f32 v12, v13, v6, v12
	v_fma_f32 v6, -v18, v20, 1.0
	v_fmac_f32_e32 v20, v6, v20
	v_div_scale_f32 v6, vcc, v9, v11, v9
	v_mul_f32_e32 v13, v6, v20
	v_fma_f32 v14, -v18, v13, v6
	v_fmac_f32_e32 v13, v14, v20
	v_fma_f32 v6, -v18, v13, v6
	v_div_fmas_f32 v6, v6, v20, v13
	v_div_fixup_f32 v13, v6, v11, v9
	v_add_u32_e32 v6, 0x1c00, v5
	v_mov_b32_e32 v9, v10
	ds_read2_b32 v[10:11], v6 offset0:239 offset1:255
	ds_read2st64_b32 v[14:15], v15 offset0:16 offset1:32
	v_pk_mul_f32 v[8:9], v[12:13], v[8:9]
	s_nop 0
	v_sub_f32_e32 v6, v7, v8
	v_sub_f32_e32 v8, v6, v9
	s_waitcnt lgkmcnt(1)
	v_mov_b32_e32 v6, v10
	s_waitcnt lgkmcnt(0)
	v_mov_b32_e32 v7, v15
	v_pk_mul_f32 v[6:7], v[12:13], v[6:7]
	s_nop 0
	v_sub_f32_e32 v6, v11, v6
	v_sub_f32_e32 v6, v6, v7
	ds_write_b32 v5, v6 offset:8188
	v_mul_f32_e64 v6, v12, -v17
	ds_write_b32 v16, v6
	v_mul_f32_e64 v6, v13, -v14
	v_add_u32_e32 v5, 0xfc, v5
	ds_write2st64_b32 v5, v8, v6 offset0:7 offset1:15
.LBB18_10:
	s_or_b64 exec, exec, s[12:13]
	v_cmp_gt_u32_e64 s[12:13], 8, v0
	s_waitcnt lgkmcnt(0)
	s_barrier
	s_and_saveexec_b64 s[14:15], s[12:13]
	s_cbranch_execz .LBB18_12
; %bb.11:
	v_lshlrev_b32_e32 v5, 8, v4
	v_lshl_or_b32 v6, v4, 6, 31
	v_min_u32_e32 v10, 0x1ff, v6
	v_add_u32_e32 v16, -4, v5
	v_add_u32_e32 v6, 0x400, v5
	ds_read_b32 v12, v16
	ds_read2_b32 v[6:7], v6 offset0:223 offset1:255
	v_add_u32_e32 v8, 0xffffff7c, v5
	ds_read_b32 v17, v8
	v_add_u32_e32 v9, 0xc00, v5
	v_lshlrev_b32_e32 v15, 2, v10
	s_waitcnt lgkmcnt(1)
	v_div_scale_f32 v13, s[16:17], v6, v6, v12
	v_rcp_f32_e32 v14, v13
	ds_read2_b32 v[8:9], v9 offset0:223 offset1:255
	ds_read2st64_b32 v[10:11], v15 offset1:8
	v_fma_f32 v18, -v13, v14, 1.0
	v_fmac_f32_e32 v14, v18, v14
	v_div_scale_f32 v18, vcc, v12, v6, v12
	v_mul_f32_e32 v19, v18, v14
	v_fma_f32 v20, -v13, v19, v18
	v_fmac_f32_e32 v19, v20, v14
	v_fma_f32 v13, -v13, v19, v18
	s_waitcnt lgkmcnt(0)
	v_div_scale_f32 v18, s[16:17], v11, v11, v9
	v_rcp_f32_e32 v20, v18
	v_div_fmas_f32 v13, v13, v14, v19
	v_div_fixup_f32 v12, v13, v6, v12
	v_fma_f32 v6, -v18, v20, 1.0
	v_fmac_f32_e32 v20, v6, v20
	v_div_scale_f32 v6, vcc, v9, v11, v9
	v_mul_f32_e32 v13, v6, v20
	v_fma_f32 v14, -v18, v13, v6
	v_fmac_f32_e32 v13, v14, v20
	v_fma_f32 v6, -v18, v13, v6
	v_div_fmas_f32 v6, v6, v20, v13
	v_div_fixup_f32 v13, v6, v11, v9
	v_add_u32_e32 v6, 0x1c00, v5
	v_mov_b32_e32 v9, v10
	ds_read2_b32 v[10:11], v6 offset0:223 offset1:255
	ds_read2st64_b32 v[14:15], v15 offset0:16 offset1:32
	v_pk_mul_f32 v[8:9], v[12:13], v[8:9]
	s_nop 0
	v_sub_f32_e32 v6, v7, v8
	v_sub_f32_e32 v8, v6, v9
	s_waitcnt lgkmcnt(1)
	v_mov_b32_e32 v6, v10
	s_waitcnt lgkmcnt(0)
	v_mov_b32_e32 v7, v15
	v_pk_mul_f32 v[6:7], v[12:13], v[6:7]
	s_nop 0
	v_sub_f32_e32 v6, v11, v6
	v_sub_f32_e32 v6, v6, v7
	ds_write_b32 v5, v6 offset:8188
	v_mul_f32_e64 v6, v12, -v17
	ds_write_b32 v16, v6
	v_mul_f32_e64 v6, v13, -v14
	v_add_u32_e32 v5, 0xfc, v5
	ds_write2st64_b32 v5, v8, v6 offset0:7 offset1:15
.LBB18_12:
	s_or_b64 exec, exec, s[14:15]
	v_cmp_gt_u32_e64 s[16:17], 4, v0
	s_waitcnt lgkmcnt(0)
	s_barrier
	s_and_saveexec_b64 s[14:15], s[16:17]
	s_cbranch_execz .LBB18_14
; %bb.13:
	v_lshlrev_b32_e32 v5, 9, v4
	v_add_u32_e32 v16, -4, v5
	ds_read_b32 v14, v16
	v_add_u32_e32 v17, 0xfc, v5
	v_add_u32_e32 v13, 0xfffffefc, v5
	ds_read2st64_b32 v[6:7], v17 offset0:6 offset1:7
	ds_read2st64_b32 v[8:9], v17 offset0:14 offset1:15
	;; [unrolled: 1-line block ×3, first 2 shown]
	ds_read_b32 v18, v13
	v_lshl_or_b32 v12, v4, 7, 63
	s_waitcnt lgkmcnt(3)
	v_div_scale_f32 v15, s[18:19], v6, v6, v14
	v_rcp_f32_e32 v19, v15
	v_min_u32_e32 v12, 0x1ff, v12
	v_lshlrev_b32_e32 v20, 2, v12
	ds_read2st64_b32 v[12:13], v20 offset1:8
	v_fma_f32 v21, -v15, v19, 1.0
	v_fmac_f32_e32 v19, v21, v19
	v_div_scale_f32 v21, vcc, v14, v6, v14
	v_mul_f32_e32 v22, v21, v19
	v_fma_f32 v23, -v15, v22, v21
	v_fmac_f32_e32 v22, v23, v19
	v_fma_f32 v15, -v15, v22, v21
	s_waitcnt lgkmcnt(0)
	v_div_scale_f32 v21, s[18:19], v13, v13, v9
	v_rcp_f32_e32 v23, v21
	v_div_fmas_f32 v15, v15, v19, v22
	v_div_fixup_f32 v14, v15, v6, v14
	v_fma_f32 v6, -v21, v23, 1.0
	v_fmac_f32_e32 v23, v6, v23
	v_div_scale_f32 v6, vcc, v9, v13, v9
	v_mul_f32_e32 v15, v6, v23
	v_fma_f32 v19, -v21, v15, v6
	v_fmac_f32_e32 v15, v19, v23
	v_fma_f32 v6, -v21, v15, v6
	v_div_fmas_f32 v6, v6, v23, v15
	v_div_fixup_f32 v15, v6, v13, v9
	v_mov_b32_e32 v9, v12
	ds_read2st64_b32 v[12:13], v20 offset0:16 offset1:32
	v_pk_mul_f32 v[8:9], v[14:15], v[8:9]
	s_nop 0
	v_sub_f32_e32 v6, v7, v8
	v_sub_f32_e32 v8, v6, v9
	v_mov_b32_e32 v6, v10
	s_waitcnt lgkmcnt(0)
	v_mov_b32_e32 v7, v13
	v_pk_mul_f32 v[6:7], v[14:15], v[6:7]
	s_nop 0
	v_sub_f32_e32 v6, v11, v6
	v_sub_f32_e32 v6, v6, v7
	ds_write_b32 v5, v6 offset:8188
	v_mul_f32_e64 v5, v14, -v18
	ds_write_b32 v16, v5
	v_mul_f32_e64 v5, v15, -v12
	ds_write2st64_b32 v17, v8, v5 offset0:7 offset1:15
.LBB18_14:
	s_or_b64 exec, exec, s[14:15]
	v_cmp_gt_u32_e64 s[18:19], 2, v0
	s_waitcnt lgkmcnt(0)
	s_barrier
	s_and_saveexec_b64 s[14:15], s[18:19]
	s_cbranch_execz .LBB18_16
; %bb.15:
	v_lshlrev_b32_e32 v14, 10, v4
	v_mov_b32_e32 v5, 0x7f
	v_add_u32_e32 v15, -4, v14
	v_add_u32_e32 v16, 0xfc, v14
	v_lshl_or_b32 v6, v4, 8, v5
	ds_read_b32 v10, v15
	ds_read2st64_b32 v[4:5], v16 offset0:5 offset1:7
	v_min_u32_e32 v8, 0x1ff, v6
	v_add_u32_e32 v6, 0xfffffdfc, v14
	ds_read_b32 v17, v6
	v_lshlrev_b32_e32 v13, 2, v8
	s_waitcnt lgkmcnt(1)
	v_div_scale_f32 v11, s[22:23], v4, v4, v10
	v_rcp_f32_e32 v12, v11
	ds_read2st64_b32 v[6:7], v16 offset0:13 offset1:15
	ds_read2st64_b32 v[8:9], v13 offset1:8
	v_fma_f32 v18, -v11, v12, 1.0
	v_fmac_f32_e32 v12, v18, v12
	v_div_scale_f32 v18, vcc, v10, v4, v10
	v_mul_f32_e32 v19, v18, v12
	v_fma_f32 v20, -v11, v19, v18
	v_fmac_f32_e32 v19, v20, v12
	v_fma_f32 v11, -v11, v19, v18
	s_waitcnt lgkmcnt(0)
	v_div_scale_f32 v18, s[22:23], v9, v9, v7
	v_rcp_f32_e32 v20, v18
	v_div_fmas_f32 v11, v11, v12, v19
	v_div_fixup_f32 v10, v11, v4, v10
	v_fma_f32 v4, -v18, v20, 1.0
	v_fmac_f32_e32 v20, v4, v20
	v_div_scale_f32 v4, vcc, v7, v9, v7
	v_mul_f32_e32 v11, v4, v20
	v_fma_f32 v12, -v18, v11, v4
	v_fmac_f32_e32 v11, v12, v20
	v_fma_f32 v4, -v18, v11, v4
	v_div_fmas_f32 v4, v4, v20, v11
	v_div_fixup_f32 v11, v4, v9, v7
	v_mov_b32_e32 v7, v8
	ds_read2st64_b32 v[8:9], v16 offset0:29 offset1:31
	ds_read2st64_b32 v[12:13], v13 offset0:16 offset1:32
	v_pk_mul_f32 v[6:7], v[10:11], v[6:7]
	s_nop 0
	v_sub_f32_e32 v4, v5, v6
	v_sub_f32_e32 v6, v4, v7
	s_waitcnt lgkmcnt(1)
	v_mov_b32_e32 v4, v8
	s_waitcnt lgkmcnt(0)
	v_mov_b32_e32 v5, v13
	v_pk_mul_f32 v[4:5], v[10:11], v[4:5]
	s_nop 0
	v_sub_f32_e32 v4, v9, v4
	v_sub_f32_e32 v4, v4, v5
	ds_write_b32 v14, v4 offset:8188
	v_mul_f32_e64 v4, v10, -v17
	ds_write_b32 v15, v4
	v_mul_f32_e64 v4, v11, -v12
	ds_write2st64_b32 v16, v6, v4 offset0:7 offset1:15
.LBB18_16:
	s_or_b64 exec, exec, s[14:15]
	v_cmp_ne_u32_e64 s[14:15], 0, v0
	v_cmp_eq_u32_e32 vcc, 0, v0
	s_waitcnt lgkmcnt(0)
	s_barrier
	s_and_saveexec_b64 s[22:23], vcc
	s_cbranch_execz .LBB18_18
; %bb.17:
	s_movk_i32 s2, 0xfc
	v_add_u32_e64 v10, s2, 0
	ds_read2st64_b32 v[4:5], v10 offset0:15 offset1:19
	ds_read2st64_b32 v[6:7], v10 offset0:7 offset1:11
	;; [unrolled: 1-line block ×3, first 2 shown]
	s_waitcnt lgkmcnt(1)
	v_mul_f32_e32 v11, v5, v6
	v_fma_f32 v11, v4, v7, -v11
	v_div_scale_f32 v12, s[24:25], v11, v11, 1.0
	v_rcp_f32_e32 v13, v12
	v_div_scale_f32 v14, vcc, 1.0, v11, 1.0
	s_waitcnt lgkmcnt(0)
	v_mul_f32_e32 v5, v5, v9
	v_fma_f32 v15, -v12, v13, 1.0
	v_fmac_f32_e32 v13, v15, v13
	v_mul_f32_e32 v15, v14, v13
	v_fma_f32 v16, -v12, v15, v14
	v_fmac_f32_e32 v15, v16, v13
	v_fma_f32 v12, -v12, v15, v14
	v_div_fmas_f32 v12, v12, v13, v15
	v_fma_f32 v4, v4, v8, -v5
	v_mul_f32_e32 v5, v6, v8
	v_div_fixup_f32 v11, v12, v11, 1.0
	v_fma_f32 v5, v7, v9, -v5
	v_mul_f32_e32 v4, v11, v4
	v_mul_f32_e32 v5, v11, v5
	ds_write2st64_b32 v10, v4, v5 offset0:27 offset1:31
.LBB18_18:
	s_or_b64 exec, exec, s[22:23]
	s_load_dwordx2 s[22:23], s[0:1], 0x30
	v_lshlrev_b32_e32 v5, 8, v0
	s_waitcnt lgkmcnt(0)
	s_barrier
	s_and_saveexec_b64 s[24:25], s[18:19]
	s_cbranch_execz .LBB18_22
; %bb.19:
	v_lshlrev_b32_e32 v4, 10, v0
	ds_read_b32 v6, v4 offset:8700
	v_lshlrev_b32_e32 v4, 2, v5
	s_and_saveexec_b64 s[18:19], s[14:15]
	s_cbranch_execz .LBB18_21
; %bb.20:
	v_add_u32_e32 v7, 0xfc, v4
	ds_read2st64_b32 v[8:9], v7 offset0:1 offset1:23
	s_waitcnt lgkmcnt(0)
	v_fma_f32 v6, -v8, v9, v6
.LBB18_21:
	s_or_b64 exec, exec, s[18:19]
	v_add_u32_e32 v7, 0xfc, v4
	ds_read_b32 v10, v4 offset:7164
	ds_read2st64_b32 v[8:9], v7 offset0:9 offset1:17
	s_waitcnt lgkmcnt(0)
	v_fma_f32 v6, -v9, v10, v6
	v_div_scale_f32 v7, s[18:19], v8, v8, v6
	v_rcp_f32_e32 v9, v7
	v_div_scale_f32 v10, vcc, v6, v8, v6
	v_fma_f32 v11, -v7, v9, 1.0
	v_fmac_f32_e32 v9, v11, v9
	v_mul_f32_e32 v11, v10, v9
	v_fma_f32 v12, -v7, v11, v10
	v_fmac_f32_e32 v11, v12, v9
	v_fma_f32 v7, -v7, v11, v10
	v_div_fmas_f32 v7, v7, v9, v11
	v_div_fixup_f32 v6, v7, v8, v6
	ds_write_b32 v4, v6 offset:6652
.LBB18_22:
	s_or_b64 exec, exec, s[24:25]
	v_or_b32_e32 v4, 0x1800, v3
	v_lshlrev_b32_e32 v6, 7, v0
	s_waitcnt lgkmcnt(0)
	s_barrier
	s_and_saveexec_b64 s[18:19], s[16:17]
	s_cbranch_execz .LBB18_26
; %bb.23:
	v_lshlrev_b32_e32 v7, 9, v0
	ds_read_b32 v8, v7 offset:8444
	v_lshlrev_b32_e32 v7, 2, v6
	s_and_saveexec_b64 s[16:17], s[14:15]
	s_cbranch_execz .LBB18_25
; %bb.24:
	v_add_u32_e32 v9, 0xfc, v7
	ds_read2st64_b32 v[10:11], v9 offset1:23
	s_waitcnt lgkmcnt(0)
	v_fma_f32 v8, -v10, v11, v8
.LBB18_25:
	s_or_b64 exec, exec, s[16:17]
	v_add_u32_e32 v9, 0xfc, v7
	ds_read_b32 v12, v7 offset:6652
	ds_read2st64_b32 v[10:11], v9 offset0:8 offset1:16
	s_waitcnt lgkmcnt(0)
	v_fma_f32 v8, -v11, v12, v8
	v_div_scale_f32 v9, s[16:17], v10, v10, v8
	v_rcp_f32_e32 v11, v9
	v_div_scale_f32 v12, vcc, v8, v10, v8
	v_fma_f32 v13, -v9, v11, 1.0
	v_fmac_f32_e32 v11, v13, v11
	v_mul_f32_e32 v13, v12, v11
	v_fma_f32 v14, -v9, v13, v12
	v_fmac_f32_e32 v13, v14, v11
	v_fma_f32 v9, -v9, v13, v12
	v_div_fmas_f32 v9, v9, v11, v13
	v_div_fixup_f32 v8, v9, v10, v8
	ds_write_b32 v7, v8 offset:6396
.LBB18_26:
	s_or_b64 exec, exec, s[18:19]
	v_lshlrev_b32_e32 v7, 6, v0
	s_waitcnt lgkmcnt(0)
	s_barrier
	s_and_saveexec_b64 s[16:17], s[12:13]
	s_cbranch_execz .LBB18_30
; %bb.27:
	ds_read_b32 v8, v5 offset:8316
	v_lshlrev_b32_e32 v5, 2, v7
	s_and_saveexec_b64 s[12:13], s[14:15]
	s_cbranch_execz .LBB18_29
; %bb.28:
	ds_read_b32 v9, v5 offset:124
	ds_read_b32 v10, v5 offset:6140
	s_waitcnt lgkmcnt(0)
	v_fma_f32 v8, -v9, v10, v8
.LBB18_29:
	s_or_b64 exec, exec, s[12:13]
	v_add_u32_e32 v9, 0x7c, v5
	ds_read_b32 v12, v5 offset:6396
	ds_read2st64_b32 v[10:11], v9 offset0:8 offset1:16
	s_waitcnt lgkmcnt(0)
	v_fma_f32 v8, -v11, v12, v8
	v_div_scale_f32 v9, s[12:13], v10, v10, v8
	v_rcp_f32_e32 v11, v9
	v_div_scale_f32 v12, vcc, v8, v10, v8
	v_fma_f32 v13, -v9, v11, 1.0
	v_fmac_f32_e32 v11, v13, v11
	v_mul_f32_e32 v13, v12, v11
	v_fma_f32 v14, -v9, v13, v12
	v_fmac_f32_e32 v13, v14, v11
	v_fma_f32 v9, -v9, v13, v12
	v_div_fmas_f32 v9, v9, v11, v13
	v_div_fixup_f32 v8, v9, v10, v8
	ds_write_b32 v5, v8 offset:6268
.LBB18_30:
	s_or_b64 exec, exec, s[16:17]
	v_lshlrev_b32_e32 v5, 5, v0
	s_waitcnt lgkmcnt(0)
	s_barrier
	s_and_saveexec_b64 s[12:13], s[10:11]
	s_cbranch_execz .LBB18_34
; %bb.31:
	ds_read_b32 v8, v6 offset:8252
	v_lshlrev_b32_e32 v6, 2, v5
	s_and_saveexec_b64 s[10:11], s[14:15]
	s_cbranch_execz .LBB18_33
; %bb.32:
	ds_read_b32 v9, v6 offset:60
	ds_read_b32 v10, v6 offset:6140
	s_waitcnt lgkmcnt(0)
	v_fma_f32 v8, -v9, v10, v8
.LBB18_33:
	s_or_b64 exec, exec, s[10:11]
	v_add_u32_e32 v9, 60, v6
	ds_read_b32 v12, v6 offset:6268
	ds_read2st64_b32 v[10:11], v9 offset0:8 offset1:16
	s_waitcnt lgkmcnt(0)
	v_fma_f32 v8, -v11, v12, v8
	v_div_scale_f32 v9, s[10:11], v10, v10, v8
	v_rcp_f32_e32 v11, v9
	v_div_scale_f32 v12, vcc, v8, v10, v8
	v_fma_f32 v13, -v9, v11, 1.0
	v_fmac_f32_e32 v11, v13, v11
	v_mul_f32_e32 v13, v12, v11
	v_fma_f32 v14, -v9, v13, v12
	v_fmac_f32_e32 v13, v14, v11
	v_fma_f32 v9, -v9, v13, v12
	v_div_fmas_f32 v9, v9, v11, v13
	v_div_fixup_f32 v8, v9, v10, v8
	ds_write_b32 v6, v8 offset:6204
.LBB18_34:
	;; [unrolled: 36-line block ×4, first 2 shown]
	s_or_b64 exec, exec, s[8:9]
	s_waitcnt lgkmcnt(0)
	s_barrier
	s_and_saveexec_b64 s[6:7], s[4:5]
	s_cbranch_execz .LBB18_46
; %bb.43:
	ds_read_b32 v5, v8 offset:8196
	v_lshlrev_b32_e32 v3, 2, v3
	s_and_saveexec_b64 s[4:5], s[14:15]
	s_cbranch_execz .LBB18_45
; %bb.44:
	ds_read_b32 v7, v3 offset:4
	ds_read_b32 v8, v3 offset:6140
	s_waitcnt lgkmcnt(0)
	v_fma_f32 v5, -v7, v8, v5
.LBB18_45:
	s_or_b64 exec, exec, s[4:5]
	v_add_u32_e32 v7, 4, v3
	ds_read_b32 v10, v3 offset:6156
	ds_read2st64_b32 v[8:9], v7 offset0:8 offset1:16
	s_waitcnt lgkmcnt(0)
	v_fma_f32 v5, -v9, v10, v5
	v_div_scale_f32 v7, s[4:5], v8, v8, v5
	v_rcp_f32_e32 v9, v7
	v_div_scale_f32 v10, vcc, v5, v8, v5
	v_fma_f32 v11, -v7, v9, 1.0
	v_fmac_f32_e32 v9, v11, v9
	v_mul_f32_e32 v11, v10, v9
	v_fma_f32 v12, -v7, v11, v10
	v_fmac_f32_e32 v11, v12, v9
	v_fma_f32 v7, -v7, v11, v10
	v_div_fmas_f32 v7, v7, v9, v11
	v_div_fixup_f32 v5, v7, v8, v5
	ds_write_b32 v3, v5 offset:6148
.LBB18_46:
	s_or_b64 exec, exec, s[6:7]
	s_waitcnt lgkmcnt(0)
	s_barrier
	s_and_saveexec_b64 s[4:5], s[20:21]
	s_cbranch_execz .LBB18_50
; %bb.47:
	ds_read_b32 v3, v6 offset:8192
	v_lshlrev_b32_e32 v0, 1, v0
	v_lshlrev_b32_e32 v0, 2, v0
	s_and_saveexec_b64 s[6:7], s[14:15]
	s_cbranch_execz .LBB18_49
; %bb.48:
	ds_read_b32 v5, v0
	ds_read_b32 v6, v0 offset:6140
	s_waitcnt lgkmcnt(0)
	v_fma_f32 v3, -v5, v6, v3
.LBB18_49:
	s_or_b64 exec, exec, s[6:7]
	ds_read2st64_b32 v[6:7], v0 offset0:8 offset1:16
	ds_read_b32 v5, v0 offset:6148
	s_waitcnt lgkmcnt(0)
	v_fma_f32 v3, -v7, v5, v3
	v_div_scale_f32 v5, s[6:7], v6, v6, v3
	v_rcp_f32_e32 v7, v5
	v_div_scale_f32 v8, vcc, v3, v6, v3
	v_fma_f32 v9, -v5, v7, 1.0
	v_fmac_f32_e32 v7, v9, v7
	v_mul_f32_e32 v9, v8, v7
	v_fma_f32 v10, -v5, v9, v8
	v_fmac_f32_e32 v9, v10, v7
	v_fma_f32 v5, -v5, v9, v8
	v_div_fmas_f32 v5, v5, v7, v9
	v_div_fixup_f32 v3, v5, v6, v3
	ds_write_b32 v0, v3 offset:6144
.LBB18_50:
	s_or_b64 exec, exec, s[4:5]
	s_load_dword s0, s[0:1], 0x8
	s_waitcnt lgkmcnt(0)
	s_barrier
	ds_read2st64_b32 v[4:5], v4 offset1:4
	s_mul_i32 s0, s0, s3
	v_add_u32_e32 v0, s0, v1
	v_mov_b32_e32 v1, 0
	v_lshl_add_u64 v[6:7], v[0:1], 2, s[22:23]
	v_add_u32_e32 v0, s0, v2
	v_lshl_add_u64 v[0:1], v[0:1], 2, s[22:23]
	s_waitcnt lgkmcnt(0)
	global_store_dword v[6:7], v4, off
	global_store_dword v[0:1], v5, off
	s_endpgm
	.section	.rodata,"a",@progbits
	.p2align	6, 0x0
	.amdhsa_kernel _ZN9rocsparseL48gtsv_nopivot_strided_batch_cr_pow2_stage2_kernelILj256EfEEviiiPKT0_S3_S3_S3_PS1_
		.amdhsa_group_segment_fixed_size 10240
		.amdhsa_private_segment_fixed_size 0
		.amdhsa_kernarg_size 312
		.amdhsa_user_sgpr_count 2
		.amdhsa_user_sgpr_dispatch_ptr 0
		.amdhsa_user_sgpr_queue_ptr 0
		.amdhsa_user_sgpr_kernarg_segment_ptr 1
		.amdhsa_user_sgpr_dispatch_id 0
		.amdhsa_user_sgpr_kernarg_preload_length 0
		.amdhsa_user_sgpr_kernarg_preload_offset 0
		.amdhsa_user_sgpr_private_segment_size 0
		.amdhsa_uses_dynamic_stack 0
		.amdhsa_enable_private_segment 0
		.amdhsa_system_sgpr_workgroup_id_x 1
		.amdhsa_system_sgpr_workgroup_id_y 1
		.amdhsa_system_sgpr_workgroup_id_z 0
		.amdhsa_system_sgpr_workgroup_info 0
		.amdhsa_system_vgpr_workitem_id 0
		.amdhsa_next_free_vgpr 24
		.amdhsa_next_free_sgpr 26
		.amdhsa_accum_offset 24
		.amdhsa_reserve_vcc 1
		.amdhsa_float_round_mode_32 0
		.amdhsa_float_round_mode_16_64 0
		.amdhsa_float_denorm_mode_32 3
		.amdhsa_float_denorm_mode_16_64 3
		.amdhsa_dx10_clamp 1
		.amdhsa_ieee_mode 1
		.amdhsa_fp16_overflow 0
		.amdhsa_tg_split 0
		.amdhsa_exception_fp_ieee_invalid_op 0
		.amdhsa_exception_fp_denorm_src 0
		.amdhsa_exception_fp_ieee_div_zero 0
		.amdhsa_exception_fp_ieee_overflow 0
		.amdhsa_exception_fp_ieee_underflow 0
		.amdhsa_exception_fp_ieee_inexact 0
		.amdhsa_exception_int_div_zero 0
	.end_amdhsa_kernel
	.section	.text._ZN9rocsparseL48gtsv_nopivot_strided_batch_cr_pow2_stage2_kernelILj256EfEEviiiPKT0_S3_S3_S3_PS1_,"axG",@progbits,_ZN9rocsparseL48gtsv_nopivot_strided_batch_cr_pow2_stage2_kernelILj256EfEEviiiPKT0_S3_S3_S3_PS1_,comdat
.Lfunc_end18:
	.size	_ZN9rocsparseL48gtsv_nopivot_strided_batch_cr_pow2_stage2_kernelILj256EfEEviiiPKT0_S3_S3_S3_PS1_, .Lfunc_end18-_ZN9rocsparseL48gtsv_nopivot_strided_batch_cr_pow2_stage2_kernelILj256EfEEviiiPKT0_S3_S3_S3_PS1_
                                        ; -- End function
	.set _ZN9rocsparseL48gtsv_nopivot_strided_batch_cr_pow2_stage2_kernelILj256EfEEviiiPKT0_S3_S3_S3_PS1_.num_vgpr, 24
	.set _ZN9rocsparseL48gtsv_nopivot_strided_batch_cr_pow2_stage2_kernelILj256EfEEviiiPKT0_S3_S3_S3_PS1_.num_agpr, 0
	.set _ZN9rocsparseL48gtsv_nopivot_strided_batch_cr_pow2_stage2_kernelILj256EfEEviiiPKT0_S3_S3_S3_PS1_.numbered_sgpr, 26
	.set _ZN9rocsparseL48gtsv_nopivot_strided_batch_cr_pow2_stage2_kernelILj256EfEEviiiPKT0_S3_S3_S3_PS1_.num_named_barrier, 0
	.set _ZN9rocsparseL48gtsv_nopivot_strided_batch_cr_pow2_stage2_kernelILj256EfEEviiiPKT0_S3_S3_S3_PS1_.private_seg_size, 0
	.set _ZN9rocsparseL48gtsv_nopivot_strided_batch_cr_pow2_stage2_kernelILj256EfEEviiiPKT0_S3_S3_S3_PS1_.uses_vcc, 1
	.set _ZN9rocsparseL48gtsv_nopivot_strided_batch_cr_pow2_stage2_kernelILj256EfEEviiiPKT0_S3_S3_S3_PS1_.uses_flat_scratch, 0
	.set _ZN9rocsparseL48gtsv_nopivot_strided_batch_cr_pow2_stage2_kernelILj256EfEEviiiPKT0_S3_S3_S3_PS1_.has_dyn_sized_stack, 0
	.set _ZN9rocsparseL48gtsv_nopivot_strided_batch_cr_pow2_stage2_kernelILj256EfEEviiiPKT0_S3_S3_S3_PS1_.has_recursion, 0
	.set _ZN9rocsparseL48gtsv_nopivot_strided_batch_cr_pow2_stage2_kernelILj256EfEEviiiPKT0_S3_S3_S3_PS1_.has_indirect_call, 0
	.section	.AMDGPU.csdata,"",@progbits
; Kernel info:
; codeLenInByte = 5228
; TotalNumSgprs: 32
; NumVgprs: 24
; NumAgprs: 0
; TotalNumVgprs: 24
; ScratchSize: 0
; MemoryBound: 0
; FloatMode: 240
; IeeeMode: 1
; LDSByteSize: 10240 bytes/workgroup (compile time only)
; SGPRBlocks: 3
; VGPRBlocks: 2
; NumSGPRsForWavesPerEU: 32
; NumVGPRsForWavesPerEU: 24
; AccumOffset: 24
; Occupancy: 8
; WaveLimiterHint : 0
; COMPUTE_PGM_RSRC2:SCRATCH_EN: 0
; COMPUTE_PGM_RSRC2:USER_SGPR: 2
; COMPUTE_PGM_RSRC2:TRAP_HANDLER: 0
; COMPUTE_PGM_RSRC2:TGID_X_EN: 1
; COMPUTE_PGM_RSRC2:TGID_Y_EN: 1
; COMPUTE_PGM_RSRC2:TGID_Z_EN: 0
; COMPUTE_PGM_RSRC2:TIDIG_COMP_CNT: 0
; COMPUTE_PGM_RSRC3_GFX90A:ACCUM_OFFSET: 5
; COMPUTE_PGM_RSRC3_GFX90A:TG_SPLIT: 0
	.section	.text._ZN9rocsparseL44gtsv_nopivot_strided_batch_pcr_stage1_kernelILj256EfEEviiiiPKT0_S3_S3_S3_PS1_S4_S4_S4_,"axG",@progbits,_ZN9rocsparseL44gtsv_nopivot_strided_batch_pcr_stage1_kernelILj256EfEEviiiiPKT0_S3_S3_S3_PS1_S4_S4_S4_,comdat
	.globl	_ZN9rocsparseL44gtsv_nopivot_strided_batch_pcr_stage1_kernelILj256EfEEviiiiPKT0_S3_S3_S3_PS1_S4_S4_S4_ ; -- Begin function _ZN9rocsparseL44gtsv_nopivot_strided_batch_pcr_stage1_kernelILj256EfEEviiiiPKT0_S3_S3_S3_PS1_S4_S4_S4_
	.p2align	8
	.type	_ZN9rocsparseL44gtsv_nopivot_strided_batch_pcr_stage1_kernelILj256EfEEviiiiPKT0_S3_S3_S3_PS1_S4_S4_S4_,@function
_ZN9rocsparseL44gtsv_nopivot_strided_batch_pcr_stage1_kernelILj256EfEEviiiiPKT0_S3_S3_S3_PS1_S4_S4_S4_: ; @_ZN9rocsparseL44gtsv_nopivot_strided_batch_pcr_stage1_kernelILj256EfEEviiiiPKT0_S3_S3_S3_PS1_S4_S4_S4_
; %bb.0:
	s_load_dwordx2 s[14:15], s[0:1], 0x0
	v_lshl_or_b32 v0, s2, 8, v0
	s_waitcnt lgkmcnt(0)
	v_cmp_gt_i32_e32 vcc, s15, v0
	s_and_saveexec_b64 s[4:5], vcc
	s_cbranch_execz .LBB19_2
; %bb.1:
	s_load_dword s12, s[0:1], 0xc
	s_load_dwordx8 s[4:11], s[0:1], 0x30
	s_load_dwordx8 s[16:23], s[0:1], 0x10
	s_mul_i32 s2, s15, s3
	v_subrev_u32_e32 v1, s14, v0
	s_waitcnt lgkmcnt(0)
	s_mul_i32 s0, s12, s3
	s_ashr_i32 s1, s0, 31
	s_lshl_b64 s[24:25], s[0:1], 2
	s_add_u32 s0, s16, s24
	s_addc_u32 s1, s17, s25
	s_ashr_i32 s3, s2, 31
	s_lshl_b64 s[16:17], s[2:3], 2
	s_add_u32 s2, s4, s16
	s_addc_u32 s3, s5, s17
	s_add_u32 s18, s18, s24
	s_addc_u32 s19, s19, s25
	;; [unrolled: 2-line block ×3, first 2 shown]
	v_max_i32_e32 v2, 0, v1
	v_ashrrev_i32_e32 v1, 31, v0
	s_add_u32 s12, s20, s24
	v_lshlrev_b64 v[4:5], 2, v[0:1]
	v_mov_b32_e32 v3, 0
	s_addc_u32 s13, s21, s25
	v_lshl_add_u64 v[6:7], s[0:1], 0, v[4:5]
	v_lshlrev_b64 v[2:3], 2, v[2:3]
	s_add_u32 s6, s8, s16
	global_load_dword v12, v[6:7], off
	v_lshl_add_u64 v[6:7], s[18:19], 0, v[2:3]
	s_addc_u32 s7, s9, s17
	global_load_dword v14, v[6:7], off
	s_add_u32 s8, s22, s24
	s_addc_u32 s9, s23, s25
	s_add_u32 s10, s10, s16
	s_addc_u32 s11, s11, s17
	v_add_u32_e32 v0, s14, v0
	s_add_i32 s14, s15, -1
	v_min_i32_e32 v0, s14, v0
	v_ashrrev_i32_e32 v1, 31, v0
	v_lshl_add_u64 v[6:7], s[12:13], 0, v[4:5]
	v_lshlrev_b64 v[0:1], 2, v[0:1]
	global_load_dword v13, v[6:7], off
	v_lshl_add_u64 v[6:7], s[18:19], 0, v[0:1]
	global_load_dword v15, v[6:7], off
	v_lshl_add_u64 v[6:7], s[8:9], 0, v[0:1]
	v_lshl_add_u64 v[8:9], s[8:9], 0, v[2:3]
	global_load_dword v11, v[6:7], off
	global_load_dword v10, v[8:9], off
	v_lshl_add_u64 v[6:7], s[18:19], 0, v[4:5]
	global_load_dword v16, v[6:7], off
	v_lshl_add_u64 v[6:7], s[12:13], 0, v[2:3]
	v_lshl_add_u64 v[8:9], s[0:1], 0, v[0:1]
	;; [unrolled: 1-line block ×3, first 2 shown]
	global_load_dword v6, v[6:7], off
	s_nop 0
	global_load_dword v17, v[0:1], off
	global_load_dword v7, v[8:9], off
	v_lshl_add_u64 v[0:1], s[0:1], 0, v[2:3]
	global_load_dword v18, v[0:1], off
	v_lshl_add_u64 v[0:1], s[8:9], 0, v[4:5]
	;; [unrolled: 2-line block ×3, first 2 shown]
	v_lshl_add_u64 v[2:3], s[4:5], 0, v[4:5]
	v_lshl_add_u64 v[8:9], s[6:7], 0, v[4:5]
	;; [unrolled: 1-line block ×3, first 2 shown]
	s_waitcnt vmcnt(10)
	v_div_scale_f32 v20, s[0:1], v14, v14, v12
	v_rcp_f32_e32 v21, v20
	v_div_scale_f32 v22, s[0:1], v12, v14, v12
	v_fma_f32 v23, -v20, v21, 1.0
	v_fmac_f32_e32 v21, v23, v21
	v_mul_f32_e32 v23, v22, v21
	v_fma_f32 v24, -v20, v23, v22
	v_fmac_f32_e32 v23, v24, v21
	v_fma_f32 v20, -v20, v23, v22
	s_waitcnt vmcnt(8)
	v_div_scale_f32 v24, s[2:3], v15, v15, v13
	v_rcp_f32_e32 v25, v24
	v_div_scale_f32 v22, vcc, v13, v15, v13
	v_fma_f32 v26, -v24, v25, 1.0
	v_fmac_f32_e32 v25, v26, v25
	v_mul_f32_e32 v26, v22, v25
	v_fma_f32 v27, -v24, v26, v22
	v_fmac_f32_e32 v26, v27, v25
	v_fma_f32 v22, -v24, v26, v22
	v_div_fmas_f32 v22, v22, v25, v26
	s_mov_b64 vcc, s[0:1]
	v_div_fixup_f32 v13, v22, v15, v13
	v_div_fmas_f32 v15, v20, v21, v23
	v_div_fixup_f32 v12, v15, v14, v12
	s_waitcnt vmcnt(2)
	v_pk_mul_f32 v[6:7], v[12:13], v[6:7]
	v_pk_mul_f32 v[10:11], v[12:13], v[10:11]
	s_waitcnt vmcnt(1)
	v_mul_f32_e64 v12, v12, -v18
	v_sub_f32_e32 v6, v16, v6
	s_waitcnt vmcnt(0)
	v_sub_f32_e32 v10, v19, v10
	global_store_dword v[0:1], v12, off
	v_sub_f32_e32 v0, v6, v7
	v_mul_f32_e64 v14, v13, -v17
	v_sub_f32_e32 v1, v10, v11
	global_store_dword v[2:3], v0, off
	global_store_dword v[4:5], v1, off
	;; [unrolled: 1-line block ×3, first 2 shown]
.LBB19_2:
	s_endpgm
	.section	.rodata,"a",@progbits
	.p2align	6, 0x0
	.amdhsa_kernel _ZN9rocsparseL44gtsv_nopivot_strided_batch_pcr_stage1_kernelILj256EfEEviiiiPKT0_S3_S3_S3_PS1_S4_S4_S4_
		.amdhsa_group_segment_fixed_size 0
		.amdhsa_private_segment_fixed_size 0
		.amdhsa_kernarg_size 80
		.amdhsa_user_sgpr_count 2
		.amdhsa_user_sgpr_dispatch_ptr 0
		.amdhsa_user_sgpr_queue_ptr 0
		.amdhsa_user_sgpr_kernarg_segment_ptr 1
		.amdhsa_user_sgpr_dispatch_id 0
		.amdhsa_user_sgpr_kernarg_preload_length 0
		.amdhsa_user_sgpr_kernarg_preload_offset 0
		.amdhsa_user_sgpr_private_segment_size 0
		.amdhsa_uses_dynamic_stack 0
		.amdhsa_enable_private_segment 0
		.amdhsa_system_sgpr_workgroup_id_x 1
		.amdhsa_system_sgpr_workgroup_id_y 1
		.amdhsa_system_sgpr_workgroup_id_z 0
		.amdhsa_system_sgpr_workgroup_info 0
		.amdhsa_system_vgpr_workitem_id 0
		.amdhsa_next_free_vgpr 28
		.amdhsa_next_free_sgpr 26
		.amdhsa_accum_offset 28
		.amdhsa_reserve_vcc 1
		.amdhsa_float_round_mode_32 0
		.amdhsa_float_round_mode_16_64 0
		.amdhsa_float_denorm_mode_32 3
		.amdhsa_float_denorm_mode_16_64 3
		.amdhsa_dx10_clamp 1
		.amdhsa_ieee_mode 1
		.amdhsa_fp16_overflow 0
		.amdhsa_tg_split 0
		.amdhsa_exception_fp_ieee_invalid_op 0
		.amdhsa_exception_fp_denorm_src 0
		.amdhsa_exception_fp_ieee_div_zero 0
		.amdhsa_exception_fp_ieee_overflow 0
		.amdhsa_exception_fp_ieee_underflow 0
		.amdhsa_exception_fp_ieee_inexact 0
		.amdhsa_exception_int_div_zero 0
	.end_amdhsa_kernel
	.section	.text._ZN9rocsparseL44gtsv_nopivot_strided_batch_pcr_stage1_kernelILj256EfEEviiiiPKT0_S3_S3_S3_PS1_S4_S4_S4_,"axG",@progbits,_ZN9rocsparseL44gtsv_nopivot_strided_batch_pcr_stage1_kernelILj256EfEEviiiiPKT0_S3_S3_S3_PS1_S4_S4_S4_,comdat
.Lfunc_end19:
	.size	_ZN9rocsparseL44gtsv_nopivot_strided_batch_pcr_stage1_kernelILj256EfEEviiiiPKT0_S3_S3_S3_PS1_S4_S4_S4_, .Lfunc_end19-_ZN9rocsparseL44gtsv_nopivot_strided_batch_pcr_stage1_kernelILj256EfEEviiiiPKT0_S3_S3_S3_PS1_S4_S4_S4_
                                        ; -- End function
	.set _ZN9rocsparseL44gtsv_nopivot_strided_batch_pcr_stage1_kernelILj256EfEEviiiiPKT0_S3_S3_S3_PS1_S4_S4_S4_.num_vgpr, 28
	.set _ZN9rocsparseL44gtsv_nopivot_strided_batch_pcr_stage1_kernelILj256EfEEviiiiPKT0_S3_S3_S3_PS1_S4_S4_S4_.num_agpr, 0
	.set _ZN9rocsparseL44gtsv_nopivot_strided_batch_pcr_stage1_kernelILj256EfEEviiiiPKT0_S3_S3_S3_PS1_S4_S4_S4_.numbered_sgpr, 26
	.set _ZN9rocsparseL44gtsv_nopivot_strided_batch_pcr_stage1_kernelILj256EfEEviiiiPKT0_S3_S3_S3_PS1_S4_S4_S4_.num_named_barrier, 0
	.set _ZN9rocsparseL44gtsv_nopivot_strided_batch_pcr_stage1_kernelILj256EfEEviiiiPKT0_S3_S3_S3_PS1_S4_S4_S4_.private_seg_size, 0
	.set _ZN9rocsparseL44gtsv_nopivot_strided_batch_pcr_stage1_kernelILj256EfEEviiiiPKT0_S3_S3_S3_PS1_S4_S4_S4_.uses_vcc, 1
	.set _ZN9rocsparseL44gtsv_nopivot_strided_batch_pcr_stage1_kernelILj256EfEEviiiiPKT0_S3_S3_S3_PS1_S4_S4_S4_.uses_flat_scratch, 0
	.set _ZN9rocsparseL44gtsv_nopivot_strided_batch_pcr_stage1_kernelILj256EfEEviiiiPKT0_S3_S3_S3_PS1_S4_S4_S4_.has_dyn_sized_stack, 0
	.set _ZN9rocsparseL44gtsv_nopivot_strided_batch_pcr_stage1_kernelILj256EfEEviiiiPKT0_S3_S3_S3_PS1_S4_S4_S4_.has_recursion, 0
	.set _ZN9rocsparseL44gtsv_nopivot_strided_batch_pcr_stage1_kernelILj256EfEEviiiiPKT0_S3_S3_S3_PS1_S4_S4_S4_.has_indirect_call, 0
	.section	.AMDGPU.csdata,"",@progbits
; Kernel info:
; codeLenInByte = 684
; TotalNumSgprs: 32
; NumVgprs: 28
; NumAgprs: 0
; TotalNumVgprs: 28
; ScratchSize: 0
; MemoryBound: 0
; FloatMode: 240
; IeeeMode: 1
; LDSByteSize: 0 bytes/workgroup (compile time only)
; SGPRBlocks: 3
; VGPRBlocks: 3
; NumSGPRsForWavesPerEU: 32
; NumVGPRsForWavesPerEU: 28
; AccumOffset: 28
; Occupancy: 8
; WaveLimiterHint : 0
; COMPUTE_PGM_RSRC2:SCRATCH_EN: 0
; COMPUTE_PGM_RSRC2:USER_SGPR: 2
; COMPUTE_PGM_RSRC2:TRAP_HANDLER: 0
; COMPUTE_PGM_RSRC2:TGID_X_EN: 1
; COMPUTE_PGM_RSRC2:TGID_Y_EN: 1
; COMPUTE_PGM_RSRC2:TGID_Z_EN: 0
; COMPUTE_PGM_RSRC2:TIDIG_COMP_CNT: 0
; COMPUTE_PGM_RSRC3_GFX90A:ACCUM_OFFSET: 6
; COMPUTE_PGM_RSRC3_GFX90A:TG_SPLIT: 0
	.section	.text._ZN9rocsparseL44gtsv_nopivot_strided_batch_pcr_stage2_kernelILj512EfEEviiiPKT0_S3_S3_S3_PS1_,"axG",@progbits,_ZN9rocsparseL44gtsv_nopivot_strided_batch_pcr_stage2_kernelILj512EfEEviiiPKT0_S3_S3_S3_PS1_,comdat
	.globl	_ZN9rocsparseL44gtsv_nopivot_strided_batch_pcr_stage2_kernelILj512EfEEviiiPKT0_S3_S3_S3_PS1_ ; -- Begin function _ZN9rocsparseL44gtsv_nopivot_strided_batch_pcr_stage2_kernelILj512EfEEviiiPKT0_S3_S3_S3_PS1_
	.p2align	8
	.type	_ZN9rocsparseL44gtsv_nopivot_strided_batch_pcr_stage2_kernelILj512EfEEviiiPKT0_S3_S3_S3_PS1_,@function
_ZN9rocsparseL44gtsv_nopivot_strided_batch_pcr_stage2_kernelILj512EfEEviiiPKT0_S3_S3_S3_PS1_: ; @_ZN9rocsparseL44gtsv_nopivot_strided_batch_pcr_stage2_kernelILj512EfEEviiiPKT0_S3_S3_S3_PS1_
; %bb.0:
	s_load_dword s4, s[0:1], 0x38
	s_load_dword s5, s[0:1], 0x0
	s_load_dwordx8 s[8:15], s[0:1], 0x10
	v_sub_u32_e64 v8, v0, 1 clamp
	v_min_u32_e32 v9, 0x1fd, v0
	s_waitcnt lgkmcnt(0)
	v_mul_lo_u32 v1, s4, v0
	v_add_u32_e32 v1, s2, v1
	s_mul_i32 s6, s5, s3
	s_add_i32 s2, s5, s2
	s_add_i32 s2, s2, s6
	s_sub_i32 s2, s2, s4
	v_add_u32_e32 v2, s6, v1
	v_mov_b32_e32 v3, s2
	v_cmp_gt_i32_e64 s[4:5], s5, v1
	v_sub_u32_e64 v10, v0, 2 clamp
	v_lshlrev_b32_e32 v12, 2, v8
	v_cndmask_b32_e64 v2, v3, v2, s[4:5]
	v_mov_b32_e32 v3, 0
	v_lshlrev_b64 v[2:3], 2, v[2:3]
	v_lshl_add_u64 v[4:5], s[8:9], 0, v[2:3]
	global_load_dword v6, v[4:5], off
	v_lshl_add_u64 v[4:5], s[10:11], 0, v[2:3]
	global_load_dword v7, v[4:5], off
	v_lshl_add_u64 v[4:5], s[12:13], 0, v[2:3]
	v_lshl_add_u64 v[2:3], s[14:15], 0, v[2:3]
	global_load_dword v4, v[4:5], off
	v_min_u32_e32 v5, 0x1fe, v0
	global_load_dword v3, v[2:3], off
	v_lshlrev_b32_e32 v5, 2, v5
	v_lshlrev_b32_e32 v2, 2, v0
	v_lshlrev_b32_e32 v8, 2, v9
	v_add_u32_e32 v14, 4, v5
	v_lshlrev_b32_e32 v16, 2, v10
	v_add_u32_e32 v17, 8, v8
	s_movk_i32 s2, 0x80
	s_waitcnt vmcnt(2)
	ds_write2st64_b32 v2, v6, v7 offset1:8
	s_waitcnt vmcnt(0)
	ds_write2st64_b32 v2, v4, v3 offset0:16 offset1:32
	s_waitcnt lgkmcnt(0)
	s_barrier
	ds_read2st64_b32 v[4:5], v2 offset1:8
	ds_read2st64_b32 v[6:7], v12 offset1:8
	ds_read2st64_b32 v[8:9], v2 offset0:16 offset1:32
	ds_read2st64_b32 v[10:11], v14 offset1:8
	ds_read2st64_b32 v[12:13], v12 offset0:16 offset1:32
	ds_read2st64_b32 v[14:15], v14 offset0:16 offset1:32
	s_waitcnt lgkmcnt(4)
	v_div_scale_f32 v3, s[6:7], v7, v7, v4
	s_waitcnt lgkmcnt(2)
	v_div_scale_f32 v19, s[6:7], v11, v11, v8
	v_rcp_f32_e32 v20, v3
	v_rcp_f32_e32 v21, v19
	v_div_scale_f32 v18, vcc, v4, v7, v4
	v_fma_f32 v23, -v3, v20, 1.0
	v_fma_f32 v24, -v19, v21, 1.0
	v_fmac_f32_e32 v20, v23, v20
	v_div_scale_f32 v22, s[6:7], v8, v11, v8
	v_fmac_f32_e32 v21, v24, v21
	v_mul_f32_e32 v23, v18, v20
	v_mul_f32_e32 v24, v22, v21
	v_fma_f32 v25, -v3, v23, v18
	v_fma_f32 v26, -v19, v24, v22
	v_fmac_f32_e32 v23, v25, v20
	v_fmac_f32_e32 v24, v26, v21
	v_fma_f32 v3, -v3, v23, v18
	v_fma_f32 v18, -v19, v24, v22
	v_div_fmas_f32 v3, v3, v20, v23
	s_mov_b64 vcc, s[6:7]
	v_div_fixup_f32 v3, v3, v7, v4
	v_div_fmas_f32 v4, v18, v21, v24
	v_div_fixup_f32 v4, v4, v11, v8
	s_waitcnt lgkmcnt(1)
	v_fma_f32 v5, -v3, v12, v5
	v_fma_f32 v7, -v3, v13, v9
	v_mul_f32_e64 v3, v3, -v6
	v_fma_f32 v5, -v4, v10, v5
	s_waitcnt lgkmcnt(0)
	v_fma_f32 v6, -v4, v15, v7
	v_mul_f32_e64 v4, v4, -v14
	s_barrier
	ds_write2st64_b32 v2, v3, v5 offset1:8
	ds_write2st64_b32 v2, v4, v6 offset0:16 offset1:32
	s_waitcnt lgkmcnt(0)
	s_barrier
	ds_read2st64_b32 v[4:5], v2 offset1:8
	ds_read2st64_b32 v[6:7], v16 offset1:8
	ds_read2st64_b32 v[8:9], v2 offset0:16 offset1:32
	ds_read2st64_b32 v[10:11], v17 offset1:8
	ds_read2st64_b32 v[12:13], v16 offset0:16 offset1:32
	ds_read2st64_b32 v[14:15], v17 offset0:16 offset1:32
	s_waitcnt lgkmcnt(4)
	v_div_scale_f32 v3, s[6:7], v7, v7, v4
	s_waitcnt lgkmcnt(2)
	v_div_scale_f32 v17, s[6:7], v11, v11, v8
	v_rcp_f32_e32 v18, v3
	v_rcp_f32_e32 v19, v17
	v_div_scale_f32 v16, vcc, v4, v7, v4
	v_fma_f32 v21, -v3, v18, 1.0
	v_fma_f32 v22, -v17, v19, 1.0
	v_fmac_f32_e32 v18, v21, v18
	v_div_scale_f32 v20, s[6:7], v8, v11, v8
	v_fmac_f32_e32 v19, v22, v19
	v_mul_f32_e32 v21, v16, v18
	v_mul_f32_e32 v22, v20, v19
	v_fma_f32 v23, -v3, v21, v16
	v_fma_f32 v24, -v17, v22, v20
	v_fmac_f32_e32 v21, v23, v18
	v_fmac_f32_e32 v22, v24, v19
	v_fma_f32 v3, -v3, v21, v16
	v_fma_f32 v16, -v17, v22, v20
	v_div_fmas_f32 v3, v3, v18, v21
	s_mov_b64 vcc, s[6:7]
	v_div_fixup_f32 v3, v3, v7, v4
	v_div_fmas_f32 v4, v16, v19, v22
	v_div_fixup_f32 v4, v4, v11, v8
	s_waitcnt lgkmcnt(1)
	v_fma_f32 v5, -v3, v12, v5
	v_fma_f32 v7, -v3, v13, v9
	v_mul_f32_e64 v3, v3, -v6
	v_fma_f32 v5, -v4, v10, v5
	s_waitcnt lgkmcnt(0)
	s_barrier
	v_fma_f32 v6, -v4, v15, v7
	v_mul_f32_e64 v4, v4, -v14
	ds_write2st64_b32 v2, v3, v5 offset1:8
	ds_write2st64_b32 v2, v4, v6 offset0:16 offset1:32
	v_sub_u32_e64 v3, v0, 4 clamp
	v_lshlrev_b32_e32 v3, 2, v3
	s_waitcnt lgkmcnt(0)
	s_barrier
	ds_read2st64_b32 v[4:5], v2 offset1:8
	ds_read2st64_b32 v[6:7], v3 offset1:8
	v_min_u32_e32 v10, 0x1fb, v0
	v_lshlrev_b32_e32 v10, 2, v10
	v_add_u32_e32 v16, 16, v10
	ds_read2st64_b32 v[10:11], v16 offset1:8
	s_waitcnt lgkmcnt(1)
	v_div_scale_f32 v12, s[6:7], v7, v7, v4
	v_rcp_f32_e32 v13, v12
	v_div_scale_f32 v14, vcc, v4, v7, v4
	v_fma_f32 v8, -v12, v13, 1.0
	v_fmac_f32_e32 v13, v8, v13
	ds_read2st64_b32 v[8:9], v2 offset0:16 offset1:32
	v_mul_f32_e32 v15, v14, v13
	v_fma_f32 v17, -v12, v15, v14
	v_fmac_f32_e32 v15, v17, v13
	v_fma_f32 v12, -v12, v15, v14
	s_waitcnt lgkmcnt(0)
	v_div_scale_f32 v14, s[6:7], v11, v11, v8
	v_rcp_f32_e32 v17, v14
	v_div_fmas_f32 v12, v12, v13, v15
	v_div_fixup_f32 v4, v12, v7, v4
	v_fma_f32 v7, -v14, v17, 1.0
	v_fmac_f32_e32 v17, v7, v17
	v_div_scale_f32 v7, vcc, v8, v11, v8
	v_mul_f32_e32 v15, v7, v17
	v_fma_f32 v12, -v14, v15, v7
	v_fmac_f32_e32 v15, v12, v17
	v_fma_f32 v7, -v14, v15, v7
	ds_read2st64_b32 v[12:13], v3 offset0:16 offset1:32
	v_div_fmas_f32 v3, v7, v17, v15
	ds_read2st64_b32 v[14:15], v16 offset0:16 offset1:32
	v_div_fixup_f32 v3, v3, v11, v8
	s_waitcnt lgkmcnt(0)
	v_fma_f32 v5, -v4, v12, v5
	v_fma_f32 v7, -v4, v13, v9
	v_fma_f32 v5, -v3, v10, v5
	v_fma_f32 v7, -v3, v15, v7
	v_mul_f32_e64 v4, v4, -v6
	v_mul_f32_e64 v3, v3, -v14
	s_barrier
	ds_write2st64_b32 v2, v4, v5 offset1:8
	ds_write2st64_b32 v2, v3, v7 offset0:16 offset1:32
	v_sub_u32_e64 v3, v0, 8 clamp
	v_lshlrev_b32_e32 v3, 2, v3
	s_waitcnt lgkmcnt(0)
	s_barrier
	ds_read2st64_b32 v[4:5], v2 offset1:8
	ds_read2st64_b32 v[6:7], v3 offset1:8
	v_min_u32_e32 v10, 0x1f7, v0
	v_lshlrev_b32_e32 v10, 2, v10
	v_add_u32_e32 v16, 32, v10
	ds_read2st64_b32 v[10:11], v16 offset1:8
	s_waitcnt lgkmcnt(1)
	v_div_scale_f32 v12, s[6:7], v7, v7, v4
	v_rcp_f32_e32 v13, v12
	v_div_scale_f32 v14, vcc, v4, v7, v4
	v_fma_f32 v8, -v12, v13, 1.0
	v_fmac_f32_e32 v13, v8, v13
	ds_read2st64_b32 v[8:9], v2 offset0:16 offset1:32
	v_mul_f32_e32 v15, v14, v13
	v_fma_f32 v17, -v12, v15, v14
	v_fmac_f32_e32 v15, v17, v13
	v_fma_f32 v12, -v12, v15, v14
	s_waitcnt lgkmcnt(0)
	v_div_scale_f32 v14, s[6:7], v11, v11, v8
	v_rcp_f32_e32 v17, v14
	v_div_fmas_f32 v12, v12, v13, v15
	v_div_fixup_f32 v4, v12, v7, v4
	v_fma_f32 v7, -v14, v17, 1.0
	v_fmac_f32_e32 v17, v7, v17
	v_div_scale_f32 v7, vcc, v8, v11, v8
	v_mul_f32_e32 v15, v7, v17
	v_fma_f32 v12, -v14, v15, v7
	v_fmac_f32_e32 v15, v12, v17
	v_fma_f32 v7, -v14, v15, v7
	ds_read2st64_b32 v[12:13], v3 offset0:16 offset1:32
	v_div_fmas_f32 v3, v7, v17, v15
	ds_read2st64_b32 v[14:15], v16 offset0:16 offset1:32
	v_div_fixup_f32 v3, v3, v11, v8
	s_waitcnt lgkmcnt(0)
	v_fma_f32 v5, -v4, v12, v5
	v_fma_f32 v7, -v4, v13, v9
	v_fma_f32 v5, -v3, v10, v5
	v_fma_f32 v7, -v3, v15, v7
	v_mul_f32_e64 v4, v4, -v6
	v_mul_f32_e64 v3, v3, -v14
	s_barrier
	;; [unrolled: 47-line block ×4, first 2 shown]
	ds_write2st64_b32 v2, v4, v5 offset1:8
	ds_write2st64_b32 v2, v3, v7 offset0:16 offset1:32
	v_sub_u32_e64 v3, v0, 64 clamp
	v_lshlrev_b32_e32 v3, 2, v3
	s_waitcnt lgkmcnt(0)
	s_barrier
	ds_read2st64_b32 v[4:5], v2 offset1:8
	ds_read2st64_b32 v[6:7], v3 offset1:8
	v_min_u32_e32 v10, 0x1bf, v0
	v_lshlrev_b32_e32 v16, 2, v10
	ds_read2st64_b32 v[10:11], v16 offset0:1 offset1:9
	s_waitcnt lgkmcnt(1)
	v_div_scale_f32 v12, s[6:7], v7, v7, v4
	v_rcp_f32_e32 v13, v12
	v_div_scale_f32 v14, vcc, v4, v7, v4
	v_fma_f32 v8, -v12, v13, 1.0
	v_fmac_f32_e32 v13, v8, v13
	ds_read2st64_b32 v[8:9], v2 offset0:16 offset1:32
	v_mul_f32_e32 v15, v14, v13
	v_fma_f32 v17, -v12, v15, v14
	v_fmac_f32_e32 v15, v17, v13
	v_fma_f32 v12, -v12, v15, v14
	s_waitcnt lgkmcnt(0)
	v_div_scale_f32 v14, s[6:7], v11, v11, v8
	v_rcp_f32_e32 v17, v14
	v_div_fmas_f32 v12, v12, v13, v15
	v_div_fixup_f32 v4, v12, v7, v4
	v_fma_f32 v7, -v14, v17, 1.0
	v_fmac_f32_e32 v17, v7, v17
	v_div_scale_f32 v7, vcc, v8, v11, v8
	v_mul_f32_e32 v15, v7, v17
	v_fma_f32 v12, -v14, v15, v7
	v_fmac_f32_e32 v15, v12, v17
	v_fma_f32 v7, -v14, v15, v7
	ds_read2st64_b32 v[12:13], v3 offset0:16 offset1:32
	v_div_fmas_f32 v3, v7, v17, v15
	ds_read2st64_b32 v[14:15], v16 offset0:17 offset1:33
	v_div_fixup_f32 v3, v3, v11, v8
	s_waitcnt lgkmcnt(0)
	v_fma_f32 v5, -v4, v12, v5
	v_fma_f32 v7, -v4, v13, v9
	;; [unrolled: 1-line block ×4, first 2 shown]
	v_mul_f32_e64 v4, v4, -v6
	v_mul_f32_e64 v3, v3, -v14
	s_barrier
	ds_write2st64_b32 v2, v4, v5 offset1:8
	ds_write2st64_b32 v2, v3, v7 offset0:16 offset1:32
	v_sub_u32_e64 v3, v0, s2 clamp
	v_lshlrev_b32_e32 v3, 2, v3
	s_waitcnt lgkmcnt(0)
	s_barrier
	ds_read2st64_b32 v[4:5], v2 offset1:8
	ds_read2st64_b32 v[6:7], v3 offset1:8
	v_min_u32_e32 v10, 0x17f, v0
	v_lshlrev_b32_e32 v16, 2, v10
	ds_read2st64_b32 v[10:11], v16 offset0:2 offset1:10
	s_movk_i32 s2, 0x100
	s_waitcnt lgkmcnt(1)
	v_div_scale_f32 v12, s[6:7], v7, v7, v4
	v_rcp_f32_e32 v13, v12
	v_div_scale_f32 v14, vcc, v4, v7, v4
	v_fma_f32 v8, -v12, v13, 1.0
	v_fmac_f32_e32 v13, v8, v13
	ds_read2st64_b32 v[8:9], v2 offset0:16 offset1:32
	v_mul_f32_e32 v15, v14, v13
	v_fma_f32 v17, -v12, v15, v14
	v_fmac_f32_e32 v15, v17, v13
	v_fma_f32 v12, -v12, v15, v14
	s_waitcnt lgkmcnt(0)
	v_div_scale_f32 v14, s[6:7], v11, v11, v8
	v_rcp_f32_e32 v17, v14
	v_div_fmas_f32 v12, v12, v13, v15
	v_div_fixup_f32 v4, v12, v7, v4
	v_fma_f32 v7, -v14, v17, 1.0
	v_fmac_f32_e32 v17, v7, v17
	v_div_scale_f32 v7, vcc, v8, v11, v8
	v_mul_f32_e32 v15, v7, v17
	v_fma_f32 v12, -v14, v15, v7
	v_fmac_f32_e32 v15, v12, v17
	ds_read2st64_b32 v[12:13], v3 offset0:16 offset1:32
	v_fma_f32 v7, -v14, v15, v7
	v_div_fmas_f32 v3, v7, v17, v15
	ds_read2st64_b32 v[14:15], v16 offset0:18 offset1:34
	v_div_fixup_f32 v3, v3, v11, v8
	s_waitcnt lgkmcnt(1)
	v_fma_f32 v5, -v4, v12, v5
	v_fma_f32 v5, -v3, v10, v5
	;; [unrolled: 1-line block ×3, first 2 shown]
	v_mul_f32_e64 v4, v4, -v6
	v_cmp_gt_u32_e32 vcc, s2, v0
	s_waitcnt lgkmcnt(0)
	v_fma_f32 v7, -v3, v15, v7
	v_mul_f32_e64 v3, v3, -v14
	s_barrier
	ds_write2st64_b32 v2, v4, v5 offset1:8
	ds_write2st64_b32 v2, v3, v7 offset0:16 offset1:32
	s_waitcnt lgkmcnt(0)
	s_barrier
	s_and_saveexec_b64 s[6:7], vcc
	s_cbranch_execz .LBB20_2
; %bb.1:
	v_or_b32_e32 v3, 0x1000, v2
	v_or_b32_e32 v0, 0x800, v2
	ds_read_b32 v3, v3
	ds_read_b32 v8, v2 offset:1024
	ds_read2st64_b32 v[4:5], v0 offset1:4
	v_or_b32_e32 v6, 0x2000, v2
	s_waitcnt lgkmcnt(1)
	v_mul_f32_e32 v0, v3, v8
	s_waitcnt lgkmcnt(0)
	v_fma_f32 v0, v5, v4, -v0
	v_div_scale_f32 v9, s[8:9], v0, v0, 1.0
	v_rcp_f32_e32 v10, v9
	v_div_scale_f32 v11, vcc, 1.0, v0, 1.0
	v_fma_f32 v7, -v9, v10, 1.0
	v_fmac_f32_e32 v10, v7, v10
	v_mul_f32_e32 v12, v11, v10
	v_fma_f32 v7, -v9, v12, v11
	v_fmac_f32_e32 v12, v7, v10
	ds_read2st64_b32 v[6:7], v6 offset1:4
	v_fma_f32 v9, -v9, v12, v11
	v_div_fmas_f32 v9, v9, v10, v12
	v_div_fixup_f32 v0, v9, v0, 1.0
	s_waitcnt lgkmcnt(0)
	v_mul_f32_e32 v3, v3, v7
	v_fma_f32 v3, v5, v6, -v3
	v_mul_f32_e32 v5, v8, v6
	v_fma_f32 v4, v4, v7, -v5
	v_mul_f32_e32 v3, v0, v3
	v_mul_f32_e32 v0, v0, v4
	ds_write2st64_b32 v2, v3, v0 offset0:24 offset1:28
.LBB20_2:
	s_or_b64 exec, exec, s[6:7]
	s_waitcnt lgkmcnt(0)
	s_barrier
	s_and_saveexec_b64 s[6:7], s[4:5]
	s_cbranch_execz .LBB20_4
; %bb.3:
	s_load_dword s2, s[0:1], 0x8
	s_load_dwordx2 s[4:5], s[0:1], 0x30
	ds_read_b32 v2, v2 offset:6144
	s_waitcnt lgkmcnt(0)
	s_mul_i32 s2, s2, s3
	v_add_u32_e32 v0, s2, v1
	v_mov_b32_e32 v1, 0
	v_lshl_add_u64 v[0:1], v[0:1], 2, s[4:5]
	global_store_dword v[0:1], v2, off
.LBB20_4:
	s_endpgm
	.section	.rodata,"a",@progbits
	.p2align	6, 0x0
	.amdhsa_kernel _ZN9rocsparseL44gtsv_nopivot_strided_batch_pcr_stage2_kernelILj512EfEEviiiPKT0_S3_S3_S3_PS1_
		.amdhsa_group_segment_fixed_size 10240
		.amdhsa_private_segment_fixed_size 0
		.amdhsa_kernarg_size 312
		.amdhsa_user_sgpr_count 2
		.amdhsa_user_sgpr_dispatch_ptr 0
		.amdhsa_user_sgpr_queue_ptr 0
		.amdhsa_user_sgpr_kernarg_segment_ptr 1
		.amdhsa_user_sgpr_dispatch_id 0
		.amdhsa_user_sgpr_kernarg_preload_length 0
		.amdhsa_user_sgpr_kernarg_preload_offset 0
		.amdhsa_user_sgpr_private_segment_size 0
		.amdhsa_uses_dynamic_stack 0
		.amdhsa_enable_private_segment 0
		.amdhsa_system_sgpr_workgroup_id_x 1
		.amdhsa_system_sgpr_workgroup_id_y 1
		.amdhsa_system_sgpr_workgroup_id_z 0
		.amdhsa_system_sgpr_workgroup_info 0
		.amdhsa_system_vgpr_workitem_id 0
		.amdhsa_next_free_vgpr 27
		.amdhsa_next_free_sgpr 16
		.amdhsa_accum_offset 28
		.amdhsa_reserve_vcc 1
		.amdhsa_float_round_mode_32 0
		.amdhsa_float_round_mode_16_64 0
		.amdhsa_float_denorm_mode_32 3
		.amdhsa_float_denorm_mode_16_64 3
		.amdhsa_dx10_clamp 1
		.amdhsa_ieee_mode 1
		.amdhsa_fp16_overflow 0
		.amdhsa_tg_split 0
		.amdhsa_exception_fp_ieee_invalid_op 0
		.amdhsa_exception_fp_denorm_src 0
		.amdhsa_exception_fp_ieee_div_zero 0
		.amdhsa_exception_fp_ieee_overflow 0
		.amdhsa_exception_fp_ieee_underflow 0
		.amdhsa_exception_fp_ieee_inexact 0
		.amdhsa_exception_int_div_zero 0
	.end_amdhsa_kernel
	.section	.text._ZN9rocsparseL44gtsv_nopivot_strided_batch_pcr_stage2_kernelILj512EfEEviiiPKT0_S3_S3_S3_PS1_,"axG",@progbits,_ZN9rocsparseL44gtsv_nopivot_strided_batch_pcr_stage2_kernelILj512EfEEviiiPKT0_S3_S3_S3_PS1_,comdat
.Lfunc_end20:
	.size	_ZN9rocsparseL44gtsv_nopivot_strided_batch_pcr_stage2_kernelILj512EfEEviiiPKT0_S3_S3_S3_PS1_, .Lfunc_end20-_ZN9rocsparseL44gtsv_nopivot_strided_batch_pcr_stage2_kernelILj512EfEEviiiPKT0_S3_S3_S3_PS1_
                                        ; -- End function
	.set _ZN9rocsparseL44gtsv_nopivot_strided_batch_pcr_stage2_kernelILj512EfEEviiiPKT0_S3_S3_S3_PS1_.num_vgpr, 27
	.set _ZN9rocsparseL44gtsv_nopivot_strided_batch_pcr_stage2_kernelILj512EfEEviiiPKT0_S3_S3_S3_PS1_.num_agpr, 0
	.set _ZN9rocsparseL44gtsv_nopivot_strided_batch_pcr_stage2_kernelILj512EfEEviiiPKT0_S3_S3_S3_PS1_.numbered_sgpr, 16
	.set _ZN9rocsparseL44gtsv_nopivot_strided_batch_pcr_stage2_kernelILj512EfEEviiiPKT0_S3_S3_S3_PS1_.num_named_barrier, 0
	.set _ZN9rocsparseL44gtsv_nopivot_strided_batch_pcr_stage2_kernelILj512EfEEviiiPKT0_S3_S3_S3_PS1_.private_seg_size, 0
	.set _ZN9rocsparseL44gtsv_nopivot_strided_batch_pcr_stage2_kernelILj512EfEEviiiPKT0_S3_S3_S3_PS1_.uses_vcc, 1
	.set _ZN9rocsparseL44gtsv_nopivot_strided_batch_pcr_stage2_kernelILj512EfEEviiiPKT0_S3_S3_S3_PS1_.uses_flat_scratch, 0
	.set _ZN9rocsparseL44gtsv_nopivot_strided_batch_pcr_stage2_kernelILj512EfEEviiiPKT0_S3_S3_S3_PS1_.has_dyn_sized_stack, 0
	.set _ZN9rocsparseL44gtsv_nopivot_strided_batch_pcr_stage2_kernelILj512EfEEviiiPKT0_S3_S3_S3_PS1_.has_recursion, 0
	.set _ZN9rocsparseL44gtsv_nopivot_strided_batch_pcr_stage2_kernelILj512EfEEviiiPKT0_S3_S3_S3_PS1_.has_indirect_call, 0
	.section	.AMDGPU.csdata,"",@progbits
; Kernel info:
; codeLenInByte = 2964
; TotalNumSgprs: 22
; NumVgprs: 27
; NumAgprs: 0
; TotalNumVgprs: 27
; ScratchSize: 0
; MemoryBound: 0
; FloatMode: 240
; IeeeMode: 1
; LDSByteSize: 10240 bytes/workgroup (compile time only)
; SGPRBlocks: 2
; VGPRBlocks: 3
; NumSGPRsForWavesPerEU: 22
; NumVGPRsForWavesPerEU: 27
; AccumOffset: 28
; Occupancy: 8
; WaveLimiterHint : 0
; COMPUTE_PGM_RSRC2:SCRATCH_EN: 0
; COMPUTE_PGM_RSRC2:USER_SGPR: 2
; COMPUTE_PGM_RSRC2:TRAP_HANDLER: 0
; COMPUTE_PGM_RSRC2:TGID_X_EN: 1
; COMPUTE_PGM_RSRC2:TGID_Y_EN: 1
; COMPUTE_PGM_RSRC2:TGID_Z_EN: 0
; COMPUTE_PGM_RSRC2:TIDIG_COMP_CNT: 0
; COMPUTE_PGM_RSRC3_GFX90A:ACCUM_OFFSET: 6
; COMPUTE_PGM_RSRC3_GFX90A:TG_SPLIT: 0
	.section	.text._ZN9rocsparseL49gtsv_nopivot_strided_batch_pcr_pow2_shared_kernelILj2EdEEviiiPKT0_S3_S3_PS1_,"axG",@progbits,_ZN9rocsparseL49gtsv_nopivot_strided_batch_pcr_pow2_shared_kernelILj2EdEEviiiPKT0_S3_S3_PS1_,comdat
	.globl	_ZN9rocsparseL49gtsv_nopivot_strided_batch_pcr_pow2_shared_kernelILj2EdEEviiiPKT0_S3_S3_PS1_ ; -- Begin function _ZN9rocsparseL49gtsv_nopivot_strided_batch_pcr_pow2_shared_kernelILj2EdEEviiiPKT0_S3_S3_PS1_
	.p2align	8
	.type	_ZN9rocsparseL49gtsv_nopivot_strided_batch_pcr_pow2_shared_kernelILj2EdEEviiiPKT0_S3_S3_PS1_,@function
_ZN9rocsparseL49gtsv_nopivot_strided_batch_pcr_pow2_shared_kernelILj2EdEEviiiPKT0_S3_S3_PS1_: ; @_ZN9rocsparseL49gtsv_nopivot_strided_batch_pcr_pow2_shared_kernelILj2EdEEviiiPKT0_S3_S3_PS1_
; %bb.0:
	s_load_dword s3, s[0:1], 0x8
	s_load_dwordx8 s[4:11], s[0:1], 0x10
	v_lshlrev_b32_e32 v1, 3, v0
	v_cmp_eq_u32_e32 vcc, 0, v0
	s_waitcnt lgkmcnt(0)
	s_mul_i32 s3, s3, s2
	v_add_u32_e32 v2, s3, v0
	v_ashrrev_i32_e32 v3, 31, v2
	v_lshlrev_b64 v[2:3], 3, v[2:3]
	v_lshl_add_u64 v[4:5], s[4:5], 0, v[2:3]
	v_lshl_add_u64 v[6:7], s[6:7], 0, v[2:3]
	global_load_dwordx2 v[8:9], v[4:5], off
	global_load_dwordx2 v[10:11], v[6:7], off
	v_lshl_add_u64 v[4:5], s[8:9], 0, v[2:3]
	v_lshl_add_u64 v[2:3], s[10:11], 0, v[2:3]
	global_load_dwordx2 v[4:5], v[4:5], off
	s_nop 0
	global_load_dwordx2 v[6:7], v[2:3], off
	s_waitcnt vmcnt(2)
	ds_write2_b64 v1, v[8:9], v[10:11] offset1:4
	s_waitcnt vmcnt(0)
	ds_write2_b64 v1, v[4:5], v[6:7] offset0:8 offset1:16
	s_waitcnt lgkmcnt(0)
	; wave barrier
	s_and_saveexec_b64 s[0:1], vcc
	s_cbranch_execz .LBB21_2
; %bb.1:
	v_or_b32_e32 v8, 64, v1
	v_mov_b32_e32 v26, 0
	v_or_b32_e32 v0, 32, v1
	ds_read2_b64 v[4:7], v26 offset0:1 offset1:5
	ds_read_b64 v[8:9], v8
	ds_read_b64 v[10:11], v0
	v_or_b32_e32 v0, 0x80, v1
	ds_read_b64 v[12:13], v0
	ds_read_b64 v[14:15], v26 offset:136
	s_waitcnt lgkmcnt(3)
	v_mul_f64 v[16:17], v[8:9], v[4:5]
	s_waitcnt lgkmcnt(2)
	v_fma_f64 v[16:17], v[6:7], v[10:11], -v[16:17]
	v_div_scale_f64 v[18:19], s[2:3], v[16:17], v[16:17], 1.0
	v_rcp_f64_e32 v[20:21], v[18:19]
	s_waitcnt lgkmcnt(0)
	v_mul_f64 v[8:9], v[8:9], v[14:15]
	v_mul_f64 v[4:5], v[4:5], v[12:13]
	v_fma_f64 v[6:7], v[6:7], v[12:13], -v[8:9]
	v_fma_f64 v[22:23], -v[18:19], v[20:21], 1.0
	v_fmac_f64_e32 v[20:21], v[20:21], v[22:23]
	v_fma_f64 v[22:23], -v[18:19], v[20:21], 1.0
	v_fmac_f64_e32 v[20:21], v[20:21], v[22:23]
	v_div_scale_f64 v[22:23], vcc, 1.0, v[16:17], 1.0
	v_mul_f64 v[24:25], v[22:23], v[20:21]
	v_fma_f64 v[18:19], -v[18:19], v[24:25], v[22:23]
	v_fma_f64 v[4:5], v[10:11], v[14:15], -v[4:5]
	s_nop 0
	v_div_fmas_f64 v[18:19], v[18:19], v[20:21], v[24:25]
	v_div_fixup_f64 v[16:17], v[18:19], v[16:17], 1.0
	v_mul_f64 v[6:7], v[16:17], v[6:7]
	v_mul_f64 v[8:9], v[16:17], v[4:5]
	ds_write_b128 v26, v[6:9] offset:96
.LBB21_2:
	s_or_b64 exec, exec, s[0:1]
	s_waitcnt lgkmcnt(0)
	; wave barrier
	ds_read_b64 v[0:1], v1 offset:96
	s_waitcnt lgkmcnt(0)
	global_store_dwordx2 v[2:3], v[0:1], off
	s_endpgm
	.section	.rodata,"a",@progbits
	.p2align	6, 0x0
	.amdhsa_kernel _ZN9rocsparseL49gtsv_nopivot_strided_batch_pcr_pow2_shared_kernelILj2EdEEviiiPKT0_S3_S3_PS1_
		.amdhsa_group_segment_fixed_size 152
		.amdhsa_private_segment_fixed_size 0
		.amdhsa_kernarg_size 48
		.amdhsa_user_sgpr_count 2
		.amdhsa_user_sgpr_dispatch_ptr 0
		.amdhsa_user_sgpr_queue_ptr 0
		.amdhsa_user_sgpr_kernarg_segment_ptr 1
		.amdhsa_user_sgpr_dispatch_id 0
		.amdhsa_user_sgpr_kernarg_preload_length 0
		.amdhsa_user_sgpr_kernarg_preload_offset 0
		.amdhsa_user_sgpr_private_segment_size 0
		.amdhsa_uses_dynamic_stack 0
		.amdhsa_enable_private_segment 0
		.amdhsa_system_sgpr_workgroup_id_x 1
		.amdhsa_system_sgpr_workgroup_id_y 0
		.amdhsa_system_sgpr_workgroup_id_z 0
		.amdhsa_system_sgpr_workgroup_info 0
		.amdhsa_system_vgpr_workitem_id 0
		.amdhsa_next_free_vgpr 27
		.amdhsa_next_free_sgpr 12
		.amdhsa_accum_offset 28
		.amdhsa_reserve_vcc 1
		.amdhsa_float_round_mode_32 0
		.amdhsa_float_round_mode_16_64 0
		.amdhsa_float_denorm_mode_32 3
		.amdhsa_float_denorm_mode_16_64 3
		.amdhsa_dx10_clamp 1
		.amdhsa_ieee_mode 1
		.amdhsa_fp16_overflow 0
		.amdhsa_tg_split 0
		.amdhsa_exception_fp_ieee_invalid_op 0
		.amdhsa_exception_fp_denorm_src 0
		.amdhsa_exception_fp_ieee_div_zero 0
		.amdhsa_exception_fp_ieee_overflow 0
		.amdhsa_exception_fp_ieee_underflow 0
		.amdhsa_exception_fp_ieee_inexact 0
		.amdhsa_exception_int_div_zero 0
	.end_amdhsa_kernel
	.section	.text._ZN9rocsparseL49gtsv_nopivot_strided_batch_pcr_pow2_shared_kernelILj2EdEEviiiPKT0_S3_S3_PS1_,"axG",@progbits,_ZN9rocsparseL49gtsv_nopivot_strided_batch_pcr_pow2_shared_kernelILj2EdEEviiiPKT0_S3_S3_PS1_,comdat
.Lfunc_end21:
	.size	_ZN9rocsparseL49gtsv_nopivot_strided_batch_pcr_pow2_shared_kernelILj2EdEEviiiPKT0_S3_S3_PS1_, .Lfunc_end21-_ZN9rocsparseL49gtsv_nopivot_strided_batch_pcr_pow2_shared_kernelILj2EdEEviiiPKT0_S3_S3_PS1_
                                        ; -- End function
	.set _ZN9rocsparseL49gtsv_nopivot_strided_batch_pcr_pow2_shared_kernelILj2EdEEviiiPKT0_S3_S3_PS1_.num_vgpr, 27
	.set _ZN9rocsparseL49gtsv_nopivot_strided_batch_pcr_pow2_shared_kernelILj2EdEEviiiPKT0_S3_S3_PS1_.num_agpr, 0
	.set _ZN9rocsparseL49gtsv_nopivot_strided_batch_pcr_pow2_shared_kernelILj2EdEEviiiPKT0_S3_S3_PS1_.numbered_sgpr, 12
	.set _ZN9rocsparseL49gtsv_nopivot_strided_batch_pcr_pow2_shared_kernelILj2EdEEviiiPKT0_S3_S3_PS1_.num_named_barrier, 0
	.set _ZN9rocsparseL49gtsv_nopivot_strided_batch_pcr_pow2_shared_kernelILj2EdEEviiiPKT0_S3_S3_PS1_.private_seg_size, 0
	.set _ZN9rocsparseL49gtsv_nopivot_strided_batch_pcr_pow2_shared_kernelILj2EdEEviiiPKT0_S3_S3_PS1_.uses_vcc, 1
	.set _ZN9rocsparseL49gtsv_nopivot_strided_batch_pcr_pow2_shared_kernelILj2EdEEviiiPKT0_S3_S3_PS1_.uses_flat_scratch, 0
	.set _ZN9rocsparseL49gtsv_nopivot_strided_batch_pcr_pow2_shared_kernelILj2EdEEviiiPKT0_S3_S3_PS1_.has_dyn_sized_stack, 0
	.set _ZN9rocsparseL49gtsv_nopivot_strided_batch_pcr_pow2_shared_kernelILj2EdEEviiiPKT0_S3_S3_PS1_.has_recursion, 0
	.set _ZN9rocsparseL49gtsv_nopivot_strided_batch_pcr_pow2_shared_kernelILj2EdEEviiiPKT0_S3_S3_PS1_.has_indirect_call, 0
	.section	.AMDGPU.csdata,"",@progbits
; Kernel info:
; codeLenInByte = 408
; TotalNumSgprs: 18
; NumVgprs: 27
; NumAgprs: 0
; TotalNumVgprs: 27
; ScratchSize: 0
; MemoryBound: 1
; FloatMode: 240
; IeeeMode: 1
; LDSByteSize: 152 bytes/workgroup (compile time only)
; SGPRBlocks: 2
; VGPRBlocks: 3
; NumSGPRsForWavesPerEU: 18
; NumVGPRsForWavesPerEU: 27
; AccumOffset: 28
; Occupancy: 8
; WaveLimiterHint : 1
; COMPUTE_PGM_RSRC2:SCRATCH_EN: 0
; COMPUTE_PGM_RSRC2:USER_SGPR: 2
; COMPUTE_PGM_RSRC2:TRAP_HANDLER: 0
; COMPUTE_PGM_RSRC2:TGID_X_EN: 1
; COMPUTE_PGM_RSRC2:TGID_Y_EN: 0
; COMPUTE_PGM_RSRC2:TGID_Z_EN: 0
; COMPUTE_PGM_RSRC2:TIDIG_COMP_CNT: 0
; COMPUTE_PGM_RSRC3_GFX90A:ACCUM_OFFSET: 6
; COMPUTE_PGM_RSRC3_GFX90A:TG_SPLIT: 0
	.section	.text._ZN9rocsparseL49gtsv_nopivot_strided_batch_pcr_pow2_shared_kernelILj4EdEEviiiPKT0_S3_S3_PS1_,"axG",@progbits,_ZN9rocsparseL49gtsv_nopivot_strided_batch_pcr_pow2_shared_kernelILj4EdEEviiiPKT0_S3_S3_PS1_,comdat
	.globl	_ZN9rocsparseL49gtsv_nopivot_strided_batch_pcr_pow2_shared_kernelILj4EdEEviiiPKT0_S3_S3_PS1_ ; -- Begin function _ZN9rocsparseL49gtsv_nopivot_strided_batch_pcr_pow2_shared_kernelILj4EdEEviiiPKT0_S3_S3_PS1_
	.p2align	8
	.type	_ZN9rocsparseL49gtsv_nopivot_strided_batch_pcr_pow2_shared_kernelILj4EdEEviiiPKT0_S3_S3_PS1_,@function
_ZN9rocsparseL49gtsv_nopivot_strided_batch_pcr_pow2_shared_kernelILj4EdEEviiiPKT0_S3_S3_PS1_: ; @_ZN9rocsparseL49gtsv_nopivot_strided_batch_pcr_pow2_shared_kernelILj4EdEEviiiPKT0_S3_S3_PS1_
; %bb.0:
	s_load_dword s3, s[0:1], 0x8
	s_load_dwordx8 s[4:11], s[0:1], 0x10
	v_min_u32_e32 v12, 2, v0
	v_sub_u32_e64 v13, v0, 1 clamp
	v_lshlrev_b32_e32 v1, 3, v0
	s_waitcnt lgkmcnt(0)
	s_mul_i32 s3, s3, s2
	v_add_u32_e32 v2, s3, v0
	v_ashrrev_i32_e32 v3, 31, v2
	v_lshlrev_b64 v[2:3], 3, v[2:3]
	v_lshl_add_u64 v[4:5], s[4:5], 0, v[2:3]
	v_lshl_add_u64 v[6:7], s[6:7], 0, v[2:3]
	global_load_dwordx2 v[8:9], v[4:5], off
	global_load_dwordx2 v[10:11], v[6:7], off
	v_lshl_add_u64 v[4:5], s[8:9], 0, v[2:3]
	v_lshl_add_u64 v[2:3], s[10:11], 0, v[2:3]
	global_load_dwordx2 v[4:5], v[4:5], off
	v_lshlrev_b32_e32 v20, 3, v13
	global_load_dwordx2 v[6:7], v[2:3], off
	v_lshlrev_b32_e32 v24, 3, v12
	s_waitcnt vmcnt(2)
	ds_write2_b64 v1, v[8:9], v[10:11] offset1:6
	s_waitcnt vmcnt(0)
	ds_write2_b64 v1, v[4:5], v[6:7] offset0:12 offset1:24
	s_waitcnt lgkmcnt(0)
	; wave barrier
	ds_read2_b64 v[4:7], v20 offset1:6
	ds_read2_b64 v[8:11], v1 offset1:6
	ds_read2_b64 v[12:15], v1 offset0:12 offset1:24
	ds_read2_b64 v[16:19], v24 offset0:1 offset1:7
	;; [unrolled: 1-line block ×4, first 2 shown]
	s_waitcnt lgkmcnt(4)
	v_div_scale_f64 v[28:29], s[0:1], v[6:7], v[6:7], v[8:9]
	s_waitcnt lgkmcnt(2)
	v_div_scale_f64 v[32:33], s[0:1], v[18:19], v[18:19], v[12:13]
	v_rcp_f64_e32 v[34:35], v[28:29]
	v_rcp_f64_e32 v[36:37], v[32:33]
	v_div_scale_f64 v[30:31], vcc, v[8:9], v[6:7], v[8:9]
	v_fma_f64 v[40:41], -v[28:29], v[34:35], 1.0
	v_fma_f64 v[42:43], -v[32:33], v[36:37], 1.0
	v_fmac_f64_e32 v[34:35], v[34:35], v[40:41]
	v_fmac_f64_e32 v[36:37], v[36:37], v[42:43]
	v_fma_f64 v[40:41], -v[28:29], v[34:35], 1.0
	v_fma_f64 v[42:43], -v[32:33], v[36:37], 1.0
	v_fmac_f64_e32 v[34:35], v[34:35], v[40:41]
	v_div_scale_f64 v[38:39], s[0:1], v[12:13], v[18:19], v[12:13]
	v_fmac_f64_e32 v[36:37], v[36:37], v[42:43]
	v_mul_f64 v[40:41], v[30:31], v[34:35]
	v_mul_f64 v[42:43], v[38:39], v[36:37]
	v_fma_f64 v[28:29], -v[28:29], v[40:41], v[30:31]
	v_fma_f64 v[30:31], -v[32:33], v[42:43], v[38:39]
	v_div_fmas_f64 v[28:29], v[28:29], v[34:35], v[40:41]
	s_mov_b64 vcc, s[0:1]
	v_div_fixup_f64 v[6:7], v[28:29], v[6:7], v[8:9]
	v_div_fmas_f64 v[8:9], v[30:31], v[36:37], v[42:43]
	v_div_fixup_f64 v[8:9], v[8:9], v[18:19], v[12:13]
	s_waitcnt lgkmcnt(1)
	v_fma_f64 v[10:11], -v[6:7], v[20:21], v[10:11]
	v_fma_f64 v[12:13], -v[6:7], v[22:23], v[14:15]
	v_mul_f64 v[4:5], v[6:7], -v[4:5]
	v_fma_f64 v[6:7], -v[8:9], v[16:17], v[10:11]
	v_cmp_gt_u32_e32 vcc, 2, v0
	s_waitcnt lgkmcnt(0)
	; wave barrier
	v_fma_f64 v[10:11], -v[8:9], v[26:27], v[12:13]
	v_mul_f64 v[8:9], v[8:9], -v[24:25]
	ds_write2_b64 v1, v[4:5], v[6:7] offset1:6
	ds_write2_b64 v1, v[8:9], v[10:11] offset0:12 offset1:24
	s_waitcnt lgkmcnt(0)
	; wave barrier
	s_and_saveexec_b64 s[0:1], vcc
	s_cbranch_execz .LBB22_2
; %bb.1:
	v_or_b32_e32 v4, 0x60, v1
	v_add_u32_e32 v0, 48, v1
	ds_read_b64 v[12:13], v4
	ds_read_b64 v[14:15], v1 offset:16
	ds_read2_b64 v[4:7], v0 offset1:2
	v_or_b32_e32 v0, 0xc0, v1
	s_waitcnt lgkmcnt(1)
	v_mul_f64 v[8:9], v[12:13], v[14:15]
	s_waitcnt lgkmcnt(0)
	v_fma_f64 v[16:17], v[6:7], v[4:5], -v[8:9]
	v_div_scale_f64 v[18:19], s[2:3], v[16:17], v[16:17], 1.0
	v_rcp_f64_e32 v[20:21], v[18:19]
	v_div_scale_f64 v[22:23], vcc, 1.0, v[16:17], 1.0
	v_fma_f64 v[8:9], -v[18:19], v[20:21], 1.0
	v_fmac_f64_e32 v[20:21], v[20:21], v[8:9]
	v_fma_f64 v[8:9], -v[18:19], v[20:21], 1.0
	v_fmac_f64_e32 v[20:21], v[20:21], v[8:9]
	ds_read2_b64 v[8:11], v0 offset1:2
	v_mul_f64 v[24:25], v[22:23], v[20:21]
	v_fma_f64 v[18:19], -v[18:19], v[24:25], v[22:23]
	v_div_fmas_f64 v[18:19], v[18:19], v[20:21], v[24:25]
	v_div_fixup_f64 v[16:17], v[18:19], v[16:17], 1.0
	s_waitcnt lgkmcnt(0)
	v_mul_f64 v[12:13], v[12:13], v[10:11]
	v_fma_f64 v[6:7], v[6:7], v[8:9], -v[12:13]
	v_mul_f64 v[8:9], v[14:15], v[8:9]
	v_fma_f64 v[4:5], v[4:5], v[10:11], -v[8:9]
	v_mul_f64 v[6:7], v[16:17], v[6:7]
	v_mul_f64 v[4:5], v[16:17], v[4:5]
	ds_write2_b64 v1, v[6:7], v[4:5] offset0:18 offset1:20
.LBB22_2:
	s_or_b64 exec, exec, s[0:1]
	s_waitcnt lgkmcnt(0)
	; wave barrier
	ds_read_b64 v[0:1], v1 offset:144
	s_waitcnt lgkmcnt(0)
	global_store_dwordx2 v[2:3], v[0:1], off
	s_endpgm
	.section	.rodata,"a",@progbits
	.p2align	6, 0x0
	.amdhsa_kernel _ZN9rocsparseL49gtsv_nopivot_strided_batch_pcr_pow2_shared_kernelILj4EdEEviiiPKT0_S3_S3_PS1_
		.amdhsa_group_segment_fixed_size 232
		.amdhsa_private_segment_fixed_size 0
		.amdhsa_kernarg_size 48
		.amdhsa_user_sgpr_count 2
		.amdhsa_user_sgpr_dispatch_ptr 0
		.amdhsa_user_sgpr_queue_ptr 0
		.amdhsa_user_sgpr_kernarg_segment_ptr 1
		.amdhsa_user_sgpr_dispatch_id 0
		.amdhsa_user_sgpr_kernarg_preload_length 0
		.amdhsa_user_sgpr_kernarg_preload_offset 0
		.amdhsa_user_sgpr_private_segment_size 0
		.amdhsa_uses_dynamic_stack 0
		.amdhsa_enable_private_segment 0
		.amdhsa_system_sgpr_workgroup_id_x 1
		.amdhsa_system_sgpr_workgroup_id_y 0
		.amdhsa_system_sgpr_workgroup_id_z 0
		.amdhsa_system_sgpr_workgroup_info 0
		.amdhsa_system_vgpr_workitem_id 0
		.amdhsa_next_free_vgpr 44
		.amdhsa_next_free_sgpr 12
		.amdhsa_accum_offset 44
		.amdhsa_reserve_vcc 1
		.amdhsa_float_round_mode_32 0
		.amdhsa_float_round_mode_16_64 0
		.amdhsa_float_denorm_mode_32 3
		.amdhsa_float_denorm_mode_16_64 3
		.amdhsa_dx10_clamp 1
		.amdhsa_ieee_mode 1
		.amdhsa_fp16_overflow 0
		.amdhsa_tg_split 0
		.amdhsa_exception_fp_ieee_invalid_op 0
		.amdhsa_exception_fp_denorm_src 0
		.amdhsa_exception_fp_ieee_div_zero 0
		.amdhsa_exception_fp_ieee_overflow 0
		.amdhsa_exception_fp_ieee_underflow 0
		.amdhsa_exception_fp_ieee_inexact 0
		.amdhsa_exception_int_div_zero 0
	.end_amdhsa_kernel
	.section	.text._ZN9rocsparseL49gtsv_nopivot_strided_batch_pcr_pow2_shared_kernelILj4EdEEviiiPKT0_S3_S3_PS1_,"axG",@progbits,_ZN9rocsparseL49gtsv_nopivot_strided_batch_pcr_pow2_shared_kernelILj4EdEEviiiPKT0_S3_S3_PS1_,comdat
.Lfunc_end22:
	.size	_ZN9rocsparseL49gtsv_nopivot_strided_batch_pcr_pow2_shared_kernelILj4EdEEviiiPKT0_S3_S3_PS1_, .Lfunc_end22-_ZN9rocsparseL49gtsv_nopivot_strided_batch_pcr_pow2_shared_kernelILj4EdEEviiiPKT0_S3_S3_PS1_
                                        ; -- End function
	.set _ZN9rocsparseL49gtsv_nopivot_strided_batch_pcr_pow2_shared_kernelILj4EdEEviiiPKT0_S3_S3_PS1_.num_vgpr, 44
	.set _ZN9rocsparseL49gtsv_nopivot_strided_batch_pcr_pow2_shared_kernelILj4EdEEviiiPKT0_S3_S3_PS1_.num_agpr, 0
	.set _ZN9rocsparseL49gtsv_nopivot_strided_batch_pcr_pow2_shared_kernelILj4EdEEviiiPKT0_S3_S3_PS1_.numbered_sgpr, 12
	.set _ZN9rocsparseL49gtsv_nopivot_strided_batch_pcr_pow2_shared_kernelILj4EdEEviiiPKT0_S3_S3_PS1_.num_named_barrier, 0
	.set _ZN9rocsparseL49gtsv_nopivot_strided_batch_pcr_pow2_shared_kernelILj4EdEEviiiPKT0_S3_S3_PS1_.private_seg_size, 0
	.set _ZN9rocsparseL49gtsv_nopivot_strided_batch_pcr_pow2_shared_kernelILj4EdEEviiiPKT0_S3_S3_PS1_.uses_vcc, 1
	.set _ZN9rocsparseL49gtsv_nopivot_strided_batch_pcr_pow2_shared_kernelILj4EdEEviiiPKT0_S3_S3_PS1_.uses_flat_scratch, 0
	.set _ZN9rocsparseL49gtsv_nopivot_strided_batch_pcr_pow2_shared_kernelILj4EdEEviiiPKT0_S3_S3_PS1_.has_dyn_sized_stack, 0
	.set _ZN9rocsparseL49gtsv_nopivot_strided_batch_pcr_pow2_shared_kernelILj4EdEEviiiPKT0_S3_S3_PS1_.has_recursion, 0
	.set _ZN9rocsparseL49gtsv_nopivot_strided_batch_pcr_pow2_shared_kernelILj4EdEEviiiPKT0_S3_S3_PS1_.has_indirect_call, 0
	.section	.AMDGPU.csdata,"",@progbits
; Kernel info:
; codeLenInByte = 700
; TotalNumSgprs: 18
; NumVgprs: 44
; NumAgprs: 0
; TotalNumVgprs: 44
; ScratchSize: 0
; MemoryBound: 1
; FloatMode: 240
; IeeeMode: 1
; LDSByteSize: 232 bytes/workgroup (compile time only)
; SGPRBlocks: 2
; VGPRBlocks: 5
; NumSGPRsForWavesPerEU: 18
; NumVGPRsForWavesPerEU: 44
; AccumOffset: 44
; Occupancy: 8
; WaveLimiterHint : 1
; COMPUTE_PGM_RSRC2:SCRATCH_EN: 0
; COMPUTE_PGM_RSRC2:USER_SGPR: 2
; COMPUTE_PGM_RSRC2:TRAP_HANDLER: 0
; COMPUTE_PGM_RSRC2:TGID_X_EN: 1
; COMPUTE_PGM_RSRC2:TGID_Y_EN: 0
; COMPUTE_PGM_RSRC2:TGID_Z_EN: 0
; COMPUTE_PGM_RSRC2:TIDIG_COMP_CNT: 0
; COMPUTE_PGM_RSRC3_GFX90A:ACCUM_OFFSET: 10
; COMPUTE_PGM_RSRC3_GFX90A:TG_SPLIT: 0
	.section	.text._ZN9rocsparseL49gtsv_nopivot_strided_batch_pcr_pow2_shared_kernelILj8EdEEviiiPKT0_S3_S3_PS1_,"axG",@progbits,_ZN9rocsparseL49gtsv_nopivot_strided_batch_pcr_pow2_shared_kernelILj8EdEEviiiPKT0_S3_S3_PS1_,comdat
	.globl	_ZN9rocsparseL49gtsv_nopivot_strided_batch_pcr_pow2_shared_kernelILj8EdEEviiiPKT0_S3_S3_PS1_ ; -- Begin function _ZN9rocsparseL49gtsv_nopivot_strided_batch_pcr_pow2_shared_kernelILj8EdEEviiiPKT0_S3_S3_PS1_
	.p2align	8
	.type	_ZN9rocsparseL49gtsv_nopivot_strided_batch_pcr_pow2_shared_kernelILj8EdEEviiiPKT0_S3_S3_PS1_,@function
_ZN9rocsparseL49gtsv_nopivot_strided_batch_pcr_pow2_shared_kernelILj8EdEEviiiPKT0_S3_S3_PS1_: ; @_ZN9rocsparseL49gtsv_nopivot_strided_batch_pcr_pow2_shared_kernelILj8EdEEviiiPKT0_S3_S3_PS1_
; %bb.0:
	s_load_dword s3, s[0:1], 0x8
	s_load_dwordx8 s[4:11], s[0:1], 0x10
	v_min_u32_e32 v12, 6, v0
	v_sub_u32_e64 v13, v0, 1 clamp
	v_lshlrev_b32_e32 v1, 3, v0
	s_waitcnt lgkmcnt(0)
	s_mul_i32 s3, s3, s2
	v_add_u32_e32 v2, s3, v0
	v_ashrrev_i32_e32 v3, 31, v2
	v_lshlrev_b64 v[2:3], 3, v[2:3]
	v_lshl_add_u64 v[4:5], s[4:5], 0, v[2:3]
	v_lshl_add_u64 v[6:7], s[6:7], 0, v[2:3]
	global_load_dwordx2 v[8:9], v[4:5], off
	global_load_dwordx2 v[10:11], v[6:7], off
	v_lshl_add_u64 v[4:5], s[8:9], 0, v[2:3]
	v_lshl_add_u64 v[2:3], s[10:11], 0, v[2:3]
	global_load_dwordx2 v[4:5], v[4:5], off
	v_min_u32_e32 v14, 5, v0
	global_load_dwordx2 v[6:7], v[2:3], off
	v_sub_u32_e64 v15, v0, 2 clamp
	v_lshlrev_b32_e32 v20, 3, v13
	v_lshlrev_b32_e32 v24, 3, v12
	;; [unrolled: 1-line block ×4, first 2 shown]
	s_waitcnt vmcnt(2)
	ds_write2_b64 v1, v[8:9], v[10:11] offset1:10
	s_waitcnt vmcnt(0)
	ds_write2_b64 v1, v[4:5], v[6:7] offset0:20 offset1:40
	s_waitcnt lgkmcnt(0)
	; wave barrier
	ds_read2_b64 v[4:7], v1 offset1:10
	ds_read2_b64 v[8:11], v20 offset1:10
	ds_read2_b64 v[12:15], v1 offset0:20 offset1:40
	ds_read2_b64 v[16:19], v24 offset0:1 offset1:11
	;; [unrolled: 1-line block ×4, first 2 shown]
	s_waitcnt lgkmcnt(4)
	v_div_scale_f64 v[28:29], s[0:1], v[10:11], v[10:11], v[4:5]
	s_waitcnt lgkmcnt(2)
	v_div_scale_f64 v[32:33], s[0:1], v[18:19], v[18:19], v[12:13]
	v_rcp_f64_e32 v[34:35], v[28:29]
	v_rcp_f64_e32 v[36:37], v[32:33]
	v_div_scale_f64 v[30:31], vcc, v[4:5], v[10:11], v[4:5]
	v_fma_f64 v[40:41], -v[28:29], v[34:35], 1.0
	v_fma_f64 v[42:43], -v[32:33], v[36:37], 1.0
	v_fmac_f64_e32 v[34:35], v[34:35], v[40:41]
	v_fmac_f64_e32 v[36:37], v[36:37], v[42:43]
	v_fma_f64 v[40:41], -v[28:29], v[34:35], 1.0
	v_fma_f64 v[42:43], -v[32:33], v[36:37], 1.0
	v_fmac_f64_e32 v[34:35], v[34:35], v[40:41]
	v_div_scale_f64 v[38:39], s[0:1], v[12:13], v[18:19], v[12:13]
	v_fmac_f64_e32 v[36:37], v[36:37], v[42:43]
	v_mul_f64 v[40:41], v[30:31], v[34:35]
	v_mul_f64 v[42:43], v[38:39], v[36:37]
	v_fma_f64 v[28:29], -v[28:29], v[40:41], v[30:31]
	v_fma_f64 v[30:31], -v[32:33], v[42:43], v[38:39]
	v_div_fmas_f64 v[28:29], v[28:29], v[34:35], v[40:41]
	s_mov_b64 vcc, s[0:1]
	v_div_fixup_f64 v[4:5], v[28:29], v[10:11], v[4:5]
	v_div_fmas_f64 v[10:11], v[30:31], v[36:37], v[42:43]
	v_div_fixup_f64 v[10:11], v[10:11], v[18:19], v[12:13]
	s_waitcnt lgkmcnt(1)
	v_fma_f64 v[6:7], -v[4:5], v[20:21], v[6:7]
	v_fma_f64 v[12:13], -v[4:5], v[22:23], v[14:15]
	v_mul_f64 v[4:5], v[4:5], -v[8:9]
	v_fma_f64 v[6:7], -v[10:11], v[16:17], v[6:7]
	s_waitcnt lgkmcnt(0)
	v_fma_f64 v[8:9], -v[10:11], v[26:27], v[12:13]
	v_mul_f64 v[10:11], v[10:11], -v[24:25]
	; wave barrier
	ds_write2_b64 v1, v[4:5], v[6:7] offset1:10
	ds_write2_b64 v1, v[10:11], v[8:9] offset0:20 offset1:40
	s_waitcnt lgkmcnt(0)
	; wave barrier
	ds_read2_b64 v[4:7], v1 offset1:10
	ds_read2_b64 v[8:11], v44 offset1:10
	ds_read2_b64 v[12:15], v1 offset0:20 offset1:40
	ds_read2_b64 v[16:19], v45 offset0:2 offset1:12
	ds_read2_b64 v[20:23], v44 offset0:20 offset1:40
	ds_read2_b64 v[24:27], v45 offset0:22 offset1:42
	s_waitcnt lgkmcnt(4)
	v_div_scale_f64 v[28:29], s[0:1], v[10:11], v[10:11], v[4:5]
	s_waitcnt lgkmcnt(2)
	v_div_scale_f64 v[32:33], s[0:1], v[18:19], v[18:19], v[12:13]
	v_rcp_f64_e32 v[34:35], v[28:29]
	v_rcp_f64_e32 v[36:37], v[32:33]
	v_div_scale_f64 v[30:31], vcc, v[4:5], v[10:11], v[4:5]
	v_fma_f64 v[40:41], -v[28:29], v[34:35], 1.0
	v_fma_f64 v[42:43], -v[32:33], v[36:37], 1.0
	v_fmac_f64_e32 v[34:35], v[34:35], v[40:41]
	v_fmac_f64_e32 v[36:37], v[36:37], v[42:43]
	v_fma_f64 v[40:41], -v[28:29], v[34:35], 1.0
	v_fma_f64 v[42:43], -v[32:33], v[36:37], 1.0
	v_fmac_f64_e32 v[34:35], v[34:35], v[40:41]
	v_div_scale_f64 v[38:39], s[0:1], v[12:13], v[18:19], v[12:13]
	v_fmac_f64_e32 v[36:37], v[36:37], v[42:43]
	v_mul_f64 v[40:41], v[30:31], v[34:35]
	v_mul_f64 v[42:43], v[38:39], v[36:37]
	v_fma_f64 v[28:29], -v[28:29], v[40:41], v[30:31]
	v_fma_f64 v[30:31], -v[32:33], v[42:43], v[38:39]
	v_div_fmas_f64 v[28:29], v[28:29], v[34:35], v[40:41]
	s_mov_b64 vcc, s[0:1]
	v_div_fixup_f64 v[4:5], v[28:29], v[10:11], v[4:5]
	v_div_fmas_f64 v[10:11], v[30:31], v[36:37], v[42:43]
	v_div_fixup_f64 v[10:11], v[10:11], v[18:19], v[12:13]
	s_waitcnt lgkmcnt(1)
	v_fma_f64 v[6:7], -v[4:5], v[20:21], v[6:7]
	v_fma_f64 v[12:13], -v[4:5], v[22:23], v[14:15]
	v_mul_f64 v[4:5], v[4:5], -v[8:9]
	v_fma_f64 v[6:7], -v[10:11], v[16:17], v[6:7]
	v_cmp_gt_u32_e32 vcc, 4, v0
	s_waitcnt lgkmcnt(0)
	; wave barrier
	v_fma_f64 v[8:9], -v[10:11], v[26:27], v[12:13]
	v_mul_f64 v[10:11], v[10:11], -v[24:25]
	ds_write2_b64 v1, v[4:5], v[6:7] offset1:10
	ds_write2_b64 v1, v[10:11], v[8:9] offset0:20 offset1:40
	s_waitcnt lgkmcnt(0)
	; wave barrier
	s_and_saveexec_b64 s[0:1], vcc
	s_cbranch_execz .LBB23_2
; %bb.1:
	v_add_u32_e32 v4, 0xa0, v1
	v_add_u32_e32 v0, 0x50, v1
	ds_read_b64 v[12:13], v4
	ds_read_b64 v[14:15], v1 offset:32
	ds_read2_b64 v[4:7], v0 offset1:4
	v_or_b32_e32 v0, 0x140, v1
	s_waitcnt lgkmcnt(1)
	v_mul_f64 v[8:9], v[12:13], v[14:15]
	s_waitcnt lgkmcnt(0)
	v_fma_f64 v[16:17], v[6:7], v[4:5], -v[8:9]
	v_div_scale_f64 v[18:19], s[2:3], v[16:17], v[16:17], 1.0
	v_rcp_f64_e32 v[20:21], v[18:19]
	v_div_scale_f64 v[22:23], vcc, 1.0, v[16:17], 1.0
	v_fma_f64 v[8:9], -v[18:19], v[20:21], 1.0
	v_fmac_f64_e32 v[20:21], v[20:21], v[8:9]
	v_fma_f64 v[8:9], -v[18:19], v[20:21], 1.0
	v_fmac_f64_e32 v[20:21], v[20:21], v[8:9]
	ds_read2_b64 v[8:11], v0 offset1:4
	v_mul_f64 v[24:25], v[22:23], v[20:21]
	v_fma_f64 v[18:19], -v[18:19], v[24:25], v[22:23]
	v_div_fmas_f64 v[18:19], v[18:19], v[20:21], v[24:25]
	v_div_fixup_f64 v[16:17], v[18:19], v[16:17], 1.0
	s_waitcnt lgkmcnt(0)
	v_mul_f64 v[12:13], v[12:13], v[10:11]
	v_fma_f64 v[6:7], v[6:7], v[8:9], -v[12:13]
	v_mul_f64 v[8:9], v[14:15], v[8:9]
	v_fma_f64 v[4:5], v[4:5], v[10:11], -v[8:9]
	v_mul_f64 v[6:7], v[16:17], v[6:7]
	v_mul_f64 v[4:5], v[16:17], v[4:5]
	ds_write2_b64 v1, v[6:7], v[4:5] offset0:30 offset1:34
.LBB23_2:
	s_or_b64 exec, exec, s[0:1]
	s_waitcnt lgkmcnt(0)
	; wave barrier
	ds_read_b64 v[0:1], v1 offset:240
	s_waitcnt lgkmcnt(0)
	global_store_dwordx2 v[2:3], v[0:1], off
	s_endpgm
	.section	.rodata,"a",@progbits
	.p2align	6, 0x0
	.amdhsa_kernel _ZN9rocsparseL49gtsv_nopivot_strided_batch_pcr_pow2_shared_kernelILj8EdEEviiiPKT0_S3_S3_PS1_
		.amdhsa_group_segment_fixed_size 392
		.amdhsa_private_segment_fixed_size 0
		.amdhsa_kernarg_size 48
		.amdhsa_user_sgpr_count 2
		.amdhsa_user_sgpr_dispatch_ptr 0
		.amdhsa_user_sgpr_queue_ptr 0
		.amdhsa_user_sgpr_kernarg_segment_ptr 1
		.amdhsa_user_sgpr_dispatch_id 0
		.amdhsa_user_sgpr_kernarg_preload_length 0
		.amdhsa_user_sgpr_kernarg_preload_offset 0
		.amdhsa_user_sgpr_private_segment_size 0
		.amdhsa_uses_dynamic_stack 0
		.amdhsa_enable_private_segment 0
		.amdhsa_system_sgpr_workgroup_id_x 1
		.amdhsa_system_sgpr_workgroup_id_y 0
		.amdhsa_system_sgpr_workgroup_id_z 0
		.amdhsa_system_sgpr_workgroup_info 0
		.amdhsa_system_vgpr_workitem_id 0
		.amdhsa_next_free_vgpr 46
		.amdhsa_next_free_sgpr 12
		.amdhsa_accum_offset 48
		.amdhsa_reserve_vcc 1
		.amdhsa_float_round_mode_32 0
		.amdhsa_float_round_mode_16_64 0
		.amdhsa_float_denorm_mode_32 3
		.amdhsa_float_denorm_mode_16_64 3
		.amdhsa_dx10_clamp 1
		.amdhsa_ieee_mode 1
		.amdhsa_fp16_overflow 0
		.amdhsa_tg_split 0
		.amdhsa_exception_fp_ieee_invalid_op 0
		.amdhsa_exception_fp_denorm_src 0
		.amdhsa_exception_fp_ieee_div_zero 0
		.amdhsa_exception_fp_ieee_overflow 0
		.amdhsa_exception_fp_ieee_underflow 0
		.amdhsa_exception_fp_ieee_inexact 0
		.amdhsa_exception_int_div_zero 0
	.end_amdhsa_kernel
	.section	.text._ZN9rocsparseL49gtsv_nopivot_strided_batch_pcr_pow2_shared_kernelILj8EdEEviiiPKT0_S3_S3_PS1_,"axG",@progbits,_ZN9rocsparseL49gtsv_nopivot_strided_batch_pcr_pow2_shared_kernelILj8EdEEviiiPKT0_S3_S3_PS1_,comdat
.Lfunc_end23:
	.size	_ZN9rocsparseL49gtsv_nopivot_strided_batch_pcr_pow2_shared_kernelILj8EdEEviiiPKT0_S3_S3_PS1_, .Lfunc_end23-_ZN9rocsparseL49gtsv_nopivot_strided_batch_pcr_pow2_shared_kernelILj8EdEEviiiPKT0_S3_S3_PS1_
                                        ; -- End function
	.set _ZN9rocsparseL49gtsv_nopivot_strided_batch_pcr_pow2_shared_kernelILj8EdEEviiiPKT0_S3_S3_PS1_.num_vgpr, 46
	.set _ZN9rocsparseL49gtsv_nopivot_strided_batch_pcr_pow2_shared_kernelILj8EdEEviiiPKT0_S3_S3_PS1_.num_agpr, 0
	.set _ZN9rocsparseL49gtsv_nopivot_strided_batch_pcr_pow2_shared_kernelILj8EdEEviiiPKT0_S3_S3_PS1_.numbered_sgpr, 12
	.set _ZN9rocsparseL49gtsv_nopivot_strided_batch_pcr_pow2_shared_kernelILj8EdEEviiiPKT0_S3_S3_PS1_.num_named_barrier, 0
	.set _ZN9rocsparseL49gtsv_nopivot_strided_batch_pcr_pow2_shared_kernelILj8EdEEviiiPKT0_S3_S3_PS1_.private_seg_size, 0
	.set _ZN9rocsparseL49gtsv_nopivot_strided_batch_pcr_pow2_shared_kernelILj8EdEEviiiPKT0_S3_S3_PS1_.uses_vcc, 1
	.set _ZN9rocsparseL49gtsv_nopivot_strided_batch_pcr_pow2_shared_kernelILj8EdEEviiiPKT0_S3_S3_PS1_.uses_flat_scratch, 0
	.set _ZN9rocsparseL49gtsv_nopivot_strided_batch_pcr_pow2_shared_kernelILj8EdEEviiiPKT0_S3_S3_PS1_.has_dyn_sized_stack, 0
	.set _ZN9rocsparseL49gtsv_nopivot_strided_batch_pcr_pow2_shared_kernelILj8EdEEviiiPKT0_S3_S3_PS1_.has_recursion, 0
	.set _ZN9rocsparseL49gtsv_nopivot_strided_batch_pcr_pow2_shared_kernelILj8EdEEviiiPKT0_S3_S3_PS1_.has_indirect_call, 0
	.section	.AMDGPU.csdata,"",@progbits
; Kernel info:
; codeLenInByte = 1012
; TotalNumSgprs: 18
; NumVgprs: 46
; NumAgprs: 0
; TotalNumVgprs: 46
; ScratchSize: 0
; MemoryBound: 1
; FloatMode: 240
; IeeeMode: 1
; LDSByteSize: 392 bytes/workgroup (compile time only)
; SGPRBlocks: 2
; VGPRBlocks: 5
; NumSGPRsForWavesPerEU: 18
; NumVGPRsForWavesPerEU: 46
; AccumOffset: 48
; Occupancy: 8
; WaveLimiterHint : 1
; COMPUTE_PGM_RSRC2:SCRATCH_EN: 0
; COMPUTE_PGM_RSRC2:USER_SGPR: 2
; COMPUTE_PGM_RSRC2:TRAP_HANDLER: 0
; COMPUTE_PGM_RSRC2:TGID_X_EN: 1
; COMPUTE_PGM_RSRC2:TGID_Y_EN: 0
; COMPUTE_PGM_RSRC2:TGID_Z_EN: 0
; COMPUTE_PGM_RSRC2:TIDIG_COMP_CNT: 0
; COMPUTE_PGM_RSRC3_GFX90A:ACCUM_OFFSET: 11
; COMPUTE_PGM_RSRC3_GFX90A:TG_SPLIT: 0
	.section	.text._ZN9rocsparseL49gtsv_nopivot_strided_batch_pcr_pow2_shared_kernelILj16EdEEviiiPKT0_S3_S3_PS1_,"axG",@progbits,_ZN9rocsparseL49gtsv_nopivot_strided_batch_pcr_pow2_shared_kernelILj16EdEEviiiPKT0_S3_S3_PS1_,comdat
	.globl	_ZN9rocsparseL49gtsv_nopivot_strided_batch_pcr_pow2_shared_kernelILj16EdEEviiiPKT0_S3_S3_PS1_ ; -- Begin function _ZN9rocsparseL49gtsv_nopivot_strided_batch_pcr_pow2_shared_kernelILj16EdEEviiiPKT0_S3_S3_PS1_
	.p2align	8
	.type	_ZN9rocsparseL49gtsv_nopivot_strided_batch_pcr_pow2_shared_kernelILj16EdEEviiiPKT0_S3_S3_PS1_,@function
_ZN9rocsparseL49gtsv_nopivot_strided_batch_pcr_pow2_shared_kernelILj16EdEEviiiPKT0_S3_S3_PS1_: ; @_ZN9rocsparseL49gtsv_nopivot_strided_batch_pcr_pow2_shared_kernelILj16EdEEviiiPKT0_S3_S3_PS1_
; %bb.0:
	s_load_dword s3, s[0:1], 0x8
	s_load_dwordx8 s[4:11], s[0:1], 0x10
	v_min_u32_e32 v12, 14, v0
	v_sub_u32_e64 v13, v0, 1 clamp
	v_lshlrev_b32_e32 v1, 3, v0
	s_waitcnt lgkmcnt(0)
	s_mul_i32 s3, s3, s2
	v_add_u32_e32 v2, s3, v0
	v_ashrrev_i32_e32 v3, 31, v2
	v_lshlrev_b64 v[2:3], 3, v[2:3]
	v_lshl_add_u64 v[4:5], s[4:5], 0, v[2:3]
	v_lshl_add_u64 v[6:7], s[6:7], 0, v[2:3]
	global_load_dwordx2 v[8:9], v[4:5], off
	global_load_dwordx2 v[10:11], v[6:7], off
	v_lshl_add_u64 v[4:5], s[8:9], 0, v[2:3]
	v_lshl_add_u64 v[2:3], s[10:11], 0, v[2:3]
	global_load_dwordx2 v[4:5], v[4:5], off
	v_min_u32_e32 v14, 13, v0
	global_load_dwordx2 v[6:7], v[2:3], off
	v_sub_u32_e64 v15, v0, 2 clamp
	v_min_u32_e32 v16, 11, v0
	v_sub_u32_e64 v17, v0, 4 clamp
	v_lshlrev_b32_e32 v20, 3, v13
	v_lshlrev_b32_e32 v24, 3, v12
	;; [unrolled: 1-line block ×6, first 2 shown]
	s_waitcnt vmcnt(2)
	ds_write2_b64 v1, v[8:9], v[10:11] offset1:18
	s_waitcnt vmcnt(0)
	ds_write2_b64 v1, v[4:5], v[6:7] offset0:36 offset1:72
	s_waitcnt lgkmcnt(0)
	; wave barrier
	ds_read2_b64 v[4:7], v1 offset1:18
	ds_read2_b64 v[8:11], v20 offset1:18
	ds_read2_b64 v[12:15], v1 offset0:36 offset1:72
	ds_read2_b64 v[16:19], v24 offset0:1 offset1:19
	;; [unrolled: 1-line block ×4, first 2 shown]
	s_waitcnt lgkmcnt(4)
	v_div_scale_f64 v[28:29], s[0:1], v[10:11], v[10:11], v[4:5]
	s_waitcnt lgkmcnt(2)
	v_div_scale_f64 v[32:33], s[0:1], v[18:19], v[18:19], v[12:13]
	v_rcp_f64_e32 v[34:35], v[28:29]
	v_rcp_f64_e32 v[36:37], v[32:33]
	v_div_scale_f64 v[30:31], vcc, v[4:5], v[10:11], v[4:5]
	v_fma_f64 v[40:41], -v[28:29], v[34:35], 1.0
	v_fma_f64 v[42:43], -v[32:33], v[36:37], 1.0
	v_fmac_f64_e32 v[34:35], v[34:35], v[40:41]
	v_fmac_f64_e32 v[36:37], v[36:37], v[42:43]
	v_fma_f64 v[40:41], -v[28:29], v[34:35], 1.0
	v_fma_f64 v[42:43], -v[32:33], v[36:37], 1.0
	v_fmac_f64_e32 v[34:35], v[34:35], v[40:41]
	v_div_scale_f64 v[38:39], s[0:1], v[12:13], v[18:19], v[12:13]
	v_fmac_f64_e32 v[36:37], v[36:37], v[42:43]
	v_mul_f64 v[40:41], v[30:31], v[34:35]
	v_mul_f64 v[42:43], v[38:39], v[36:37]
	v_fma_f64 v[28:29], -v[28:29], v[40:41], v[30:31]
	v_fma_f64 v[30:31], -v[32:33], v[42:43], v[38:39]
	v_div_fmas_f64 v[28:29], v[28:29], v[34:35], v[40:41]
	s_mov_b64 vcc, s[0:1]
	v_div_fixup_f64 v[4:5], v[28:29], v[10:11], v[4:5]
	v_div_fmas_f64 v[10:11], v[30:31], v[36:37], v[42:43]
	v_div_fixup_f64 v[10:11], v[10:11], v[18:19], v[12:13]
	s_waitcnt lgkmcnt(1)
	v_fma_f64 v[6:7], -v[4:5], v[20:21], v[6:7]
	v_fma_f64 v[12:13], -v[4:5], v[22:23], v[14:15]
	v_mul_f64 v[4:5], v[4:5], -v[8:9]
	v_fma_f64 v[6:7], -v[10:11], v[16:17], v[6:7]
	s_waitcnt lgkmcnt(0)
	v_fma_f64 v[8:9], -v[10:11], v[26:27], v[12:13]
	v_mul_f64 v[10:11], v[10:11], -v[24:25]
	; wave barrier
	ds_write2_b64 v1, v[4:5], v[6:7] offset1:18
	ds_write2_b64 v1, v[10:11], v[8:9] offset0:36 offset1:72
	s_waitcnt lgkmcnt(0)
	; wave barrier
	ds_read2_b64 v[4:7], v1 offset1:18
	ds_read2_b64 v[8:11], v44 offset1:18
	ds_read2_b64 v[12:15], v1 offset0:36 offset1:72
	ds_read2_b64 v[16:19], v45 offset0:2 offset1:20
	;; [unrolled: 1-line block ×4, first 2 shown]
	s_waitcnt lgkmcnt(4)
	v_div_scale_f64 v[28:29], s[0:1], v[10:11], v[10:11], v[4:5]
	s_waitcnt lgkmcnt(2)
	v_div_scale_f64 v[32:33], s[0:1], v[18:19], v[18:19], v[12:13]
	v_rcp_f64_e32 v[34:35], v[28:29]
	v_rcp_f64_e32 v[36:37], v[32:33]
	v_div_scale_f64 v[30:31], vcc, v[4:5], v[10:11], v[4:5]
	v_fma_f64 v[40:41], -v[28:29], v[34:35], 1.0
	v_fma_f64 v[42:43], -v[32:33], v[36:37], 1.0
	v_fmac_f64_e32 v[34:35], v[34:35], v[40:41]
	v_fmac_f64_e32 v[36:37], v[36:37], v[42:43]
	v_fma_f64 v[40:41], -v[28:29], v[34:35], 1.0
	v_fma_f64 v[42:43], -v[32:33], v[36:37], 1.0
	v_fmac_f64_e32 v[34:35], v[34:35], v[40:41]
	v_div_scale_f64 v[38:39], s[0:1], v[12:13], v[18:19], v[12:13]
	v_fmac_f64_e32 v[36:37], v[36:37], v[42:43]
	v_mul_f64 v[40:41], v[30:31], v[34:35]
	v_mul_f64 v[42:43], v[38:39], v[36:37]
	v_fma_f64 v[28:29], -v[28:29], v[40:41], v[30:31]
	v_fma_f64 v[30:31], -v[32:33], v[42:43], v[38:39]
	v_div_fmas_f64 v[28:29], v[28:29], v[34:35], v[40:41]
	s_mov_b64 vcc, s[0:1]
	v_div_fixup_f64 v[4:5], v[28:29], v[10:11], v[4:5]
	v_div_fmas_f64 v[10:11], v[30:31], v[36:37], v[42:43]
	v_div_fixup_f64 v[10:11], v[10:11], v[18:19], v[12:13]
	s_waitcnt lgkmcnt(1)
	v_fma_f64 v[6:7], -v[4:5], v[20:21], v[6:7]
	v_fma_f64 v[12:13], -v[4:5], v[22:23], v[14:15]
	v_mul_f64 v[4:5], v[4:5], -v[8:9]
	v_fma_f64 v[6:7], -v[10:11], v[16:17], v[6:7]
	s_waitcnt lgkmcnt(0)
	v_fma_f64 v[8:9], -v[10:11], v[26:27], v[12:13]
	v_mul_f64 v[10:11], v[10:11], -v[24:25]
	; wave barrier
	ds_write2_b64 v1, v[4:5], v[6:7] offset1:18
	ds_write2_b64 v1, v[10:11], v[8:9] offset0:36 offset1:72
	s_waitcnt lgkmcnt(0)
	; wave barrier
	ds_read2_b64 v[4:7], v1 offset1:18
	ds_read2_b64 v[8:11], v46 offset1:18
	ds_read2_b64 v[12:15], v1 offset0:36 offset1:72
	ds_read2_b64 v[16:19], v47 offset0:4 offset1:22
	s_waitcnt lgkmcnt(2)
	v_div_scale_f64 v[20:21], s[0:1], v[10:11], v[10:11], v[4:5]
	v_rcp_f64_e32 v[24:25], v[20:21]
	s_waitcnt lgkmcnt(0)
	v_div_scale_f64 v[22:23], s[0:1], v[18:19], v[18:19], v[12:13]
	v_rcp_f64_e32 v[26:27], v[22:23]
	v_fma_f64 v[30:31], -v[20:21], v[24:25], 1.0
	v_fmac_f64_e32 v[24:25], v[24:25], v[30:31]
	v_fma_f64 v[30:31], -v[20:21], v[24:25], 1.0
	v_div_scale_f64 v[28:29], vcc, v[4:5], v[10:11], v[4:5]
	v_fmac_f64_e32 v[24:25], v[24:25], v[30:31]
	v_mul_f64 v[30:31], v[28:29], v[24:25]
	v_fma_f64 v[32:33], -v[22:23], v[26:27], 1.0
	v_fma_f64 v[20:21], -v[20:21], v[30:31], v[28:29]
	v_fmac_f64_e32 v[26:27], v[26:27], v[32:33]
	v_div_fmas_f64 v[20:21], v[20:21], v[24:25], v[30:31]
	v_div_fixup_f64 v[4:5], v[20:21], v[10:11], v[4:5]
	v_fma_f64 v[10:11], -v[22:23], v[26:27], 1.0
	v_fmac_f64_e32 v[26:27], v[26:27], v[10:11]
	v_div_scale_f64 v[10:11], vcc, v[12:13], v[18:19], v[12:13]
	v_mul_f64 v[24:25], v[10:11], v[26:27]
	v_fma_f64 v[10:11], -v[22:23], v[24:25], v[10:11]
	ds_read2_b64 v[20:23], v46 offset0:36 offset1:72
	s_nop 0
	v_div_fmas_f64 v[10:11], v[10:11], v[26:27], v[24:25]
	ds_read2_b64 v[24:27], v47 offset0:40 offset1:76
	v_div_fixup_f64 v[10:11], v[10:11], v[18:19], v[12:13]
	v_cmp_gt_u32_e32 vcc, 8, v0
	s_waitcnt lgkmcnt(1)
	v_fma_f64 v[6:7], -v[4:5], v[20:21], v[6:7]
	v_fma_f64 v[6:7], -v[10:11], v[16:17], v[6:7]
	;; [unrolled: 1-line block ×3, first 2 shown]
	v_mul_f64 v[4:5], v[4:5], -v[8:9]
	s_waitcnt lgkmcnt(0)
	v_fma_f64 v[12:13], -v[10:11], v[26:27], v[12:13]
	v_mul_f64 v[8:9], v[10:11], -v[24:25]
	; wave barrier
	ds_write2_b64 v1, v[4:5], v[6:7] offset1:18
	ds_write2_b64 v1, v[8:9], v[12:13] offset0:36 offset1:72
	s_waitcnt lgkmcnt(0)
	; wave barrier
	s_and_saveexec_b64 s[0:1], vcc
	s_cbranch_execz .LBB24_2
; %bb.1:
	v_add_u32_e32 v4, 0x120, v1
	v_add_u32_e32 v0, 0x90, v1
	ds_read_b64 v[12:13], v4
	ds_read_b64 v[14:15], v1 offset:64
	ds_read2_b64 v[4:7], v0 offset1:8
	v_add_u32_e32 v0, 0x240, v1
	s_waitcnt lgkmcnt(1)
	v_mul_f64 v[8:9], v[12:13], v[14:15]
	s_waitcnt lgkmcnt(0)
	v_fma_f64 v[16:17], v[6:7], v[4:5], -v[8:9]
	v_div_scale_f64 v[18:19], s[2:3], v[16:17], v[16:17], 1.0
	v_rcp_f64_e32 v[20:21], v[18:19]
	v_div_scale_f64 v[22:23], vcc, 1.0, v[16:17], 1.0
	v_fma_f64 v[8:9], -v[18:19], v[20:21], 1.0
	v_fmac_f64_e32 v[20:21], v[20:21], v[8:9]
	v_fma_f64 v[8:9], -v[18:19], v[20:21], 1.0
	v_fmac_f64_e32 v[20:21], v[20:21], v[8:9]
	ds_read2_b64 v[8:11], v0 offset1:8
	v_mul_f64 v[24:25], v[22:23], v[20:21]
	v_fma_f64 v[18:19], -v[18:19], v[24:25], v[22:23]
	v_div_fmas_f64 v[18:19], v[18:19], v[20:21], v[24:25]
	v_div_fixup_f64 v[16:17], v[18:19], v[16:17], 1.0
	s_waitcnt lgkmcnt(0)
	v_mul_f64 v[12:13], v[12:13], v[10:11]
	v_fma_f64 v[6:7], v[6:7], v[8:9], -v[12:13]
	v_mul_f64 v[8:9], v[14:15], v[8:9]
	v_fma_f64 v[4:5], v[4:5], v[10:11], -v[8:9]
	v_mul_f64 v[6:7], v[16:17], v[6:7]
	v_mul_f64 v[4:5], v[16:17], v[4:5]
	ds_write2_b64 v1, v[6:7], v[4:5] offset0:54 offset1:62
.LBB24_2:
	s_or_b64 exec, exec, s[0:1]
	s_waitcnt lgkmcnt(0)
	; wave barrier
	ds_read_b64 v[0:1], v1 offset:432
	s_waitcnt lgkmcnt(0)
	global_store_dwordx2 v[2:3], v[0:1], off
	s_endpgm
	.section	.rodata,"a",@progbits
	.p2align	6, 0x0
	.amdhsa_kernel _ZN9rocsparseL49gtsv_nopivot_strided_batch_pcr_pow2_shared_kernelILj16EdEEviiiPKT0_S3_S3_PS1_
		.amdhsa_group_segment_fixed_size 712
		.amdhsa_private_segment_fixed_size 0
		.amdhsa_kernarg_size 48
		.amdhsa_user_sgpr_count 2
		.amdhsa_user_sgpr_dispatch_ptr 0
		.amdhsa_user_sgpr_queue_ptr 0
		.amdhsa_user_sgpr_kernarg_segment_ptr 1
		.amdhsa_user_sgpr_dispatch_id 0
		.amdhsa_user_sgpr_kernarg_preload_length 0
		.amdhsa_user_sgpr_kernarg_preload_offset 0
		.amdhsa_user_sgpr_private_segment_size 0
		.amdhsa_uses_dynamic_stack 0
		.amdhsa_enable_private_segment 0
		.amdhsa_system_sgpr_workgroup_id_x 1
		.amdhsa_system_sgpr_workgroup_id_y 0
		.amdhsa_system_sgpr_workgroup_id_z 0
		.amdhsa_system_sgpr_workgroup_info 0
		.amdhsa_system_vgpr_workitem_id 0
		.amdhsa_next_free_vgpr 48
		.amdhsa_next_free_sgpr 12
		.amdhsa_accum_offset 48
		.amdhsa_reserve_vcc 1
		.amdhsa_float_round_mode_32 0
		.amdhsa_float_round_mode_16_64 0
		.amdhsa_float_denorm_mode_32 3
		.amdhsa_float_denorm_mode_16_64 3
		.amdhsa_dx10_clamp 1
		.amdhsa_ieee_mode 1
		.amdhsa_fp16_overflow 0
		.amdhsa_tg_split 0
		.amdhsa_exception_fp_ieee_invalid_op 0
		.amdhsa_exception_fp_denorm_src 0
		.amdhsa_exception_fp_ieee_div_zero 0
		.amdhsa_exception_fp_ieee_overflow 0
		.amdhsa_exception_fp_ieee_underflow 0
		.amdhsa_exception_fp_ieee_inexact 0
		.amdhsa_exception_int_div_zero 0
	.end_amdhsa_kernel
	.section	.text._ZN9rocsparseL49gtsv_nopivot_strided_batch_pcr_pow2_shared_kernelILj16EdEEviiiPKT0_S3_S3_PS1_,"axG",@progbits,_ZN9rocsparseL49gtsv_nopivot_strided_batch_pcr_pow2_shared_kernelILj16EdEEviiiPKT0_S3_S3_PS1_,comdat
.Lfunc_end24:
	.size	_ZN9rocsparseL49gtsv_nopivot_strided_batch_pcr_pow2_shared_kernelILj16EdEEviiiPKT0_S3_S3_PS1_, .Lfunc_end24-_ZN9rocsparseL49gtsv_nopivot_strided_batch_pcr_pow2_shared_kernelILj16EdEEviiiPKT0_S3_S3_PS1_
                                        ; -- End function
	.set _ZN9rocsparseL49gtsv_nopivot_strided_batch_pcr_pow2_shared_kernelILj16EdEEviiiPKT0_S3_S3_PS1_.num_vgpr, 48
	.set _ZN9rocsparseL49gtsv_nopivot_strided_batch_pcr_pow2_shared_kernelILj16EdEEviiiPKT0_S3_S3_PS1_.num_agpr, 0
	.set _ZN9rocsparseL49gtsv_nopivot_strided_batch_pcr_pow2_shared_kernelILj16EdEEviiiPKT0_S3_S3_PS1_.numbered_sgpr, 12
	.set _ZN9rocsparseL49gtsv_nopivot_strided_batch_pcr_pow2_shared_kernelILj16EdEEviiiPKT0_S3_S3_PS1_.num_named_barrier, 0
	.set _ZN9rocsparseL49gtsv_nopivot_strided_batch_pcr_pow2_shared_kernelILj16EdEEviiiPKT0_S3_S3_PS1_.private_seg_size, 0
	.set _ZN9rocsparseL49gtsv_nopivot_strided_batch_pcr_pow2_shared_kernelILj16EdEEviiiPKT0_S3_S3_PS1_.uses_vcc, 1
	.set _ZN9rocsparseL49gtsv_nopivot_strided_batch_pcr_pow2_shared_kernelILj16EdEEviiiPKT0_S3_S3_PS1_.uses_flat_scratch, 0
	.set _ZN9rocsparseL49gtsv_nopivot_strided_batch_pcr_pow2_shared_kernelILj16EdEEviiiPKT0_S3_S3_PS1_.has_dyn_sized_stack, 0
	.set _ZN9rocsparseL49gtsv_nopivot_strided_batch_pcr_pow2_shared_kernelILj16EdEEviiiPKT0_S3_S3_PS1_.has_recursion, 0
	.set _ZN9rocsparseL49gtsv_nopivot_strided_batch_pcr_pow2_shared_kernelILj16EdEEviiiPKT0_S3_S3_PS1_.has_indirect_call, 0
	.section	.AMDGPU.csdata,"",@progbits
; Kernel info:
; codeLenInByte = 1320
; TotalNumSgprs: 18
; NumVgprs: 48
; NumAgprs: 0
; TotalNumVgprs: 48
; ScratchSize: 0
; MemoryBound: 1
; FloatMode: 240
; IeeeMode: 1
; LDSByteSize: 712 bytes/workgroup (compile time only)
; SGPRBlocks: 2
; VGPRBlocks: 5
; NumSGPRsForWavesPerEU: 18
; NumVGPRsForWavesPerEU: 48
; AccumOffset: 48
; Occupancy: 8
; WaveLimiterHint : 1
; COMPUTE_PGM_RSRC2:SCRATCH_EN: 0
; COMPUTE_PGM_RSRC2:USER_SGPR: 2
; COMPUTE_PGM_RSRC2:TRAP_HANDLER: 0
; COMPUTE_PGM_RSRC2:TGID_X_EN: 1
; COMPUTE_PGM_RSRC2:TGID_Y_EN: 0
; COMPUTE_PGM_RSRC2:TGID_Z_EN: 0
; COMPUTE_PGM_RSRC2:TIDIG_COMP_CNT: 0
; COMPUTE_PGM_RSRC3_GFX90A:ACCUM_OFFSET: 11
; COMPUTE_PGM_RSRC3_GFX90A:TG_SPLIT: 0
	.section	.text._ZN9rocsparseL49gtsv_nopivot_strided_batch_pcr_pow2_shared_kernelILj32EdEEviiiPKT0_S3_S3_PS1_,"axG",@progbits,_ZN9rocsparseL49gtsv_nopivot_strided_batch_pcr_pow2_shared_kernelILj32EdEEviiiPKT0_S3_S3_PS1_,comdat
	.globl	_ZN9rocsparseL49gtsv_nopivot_strided_batch_pcr_pow2_shared_kernelILj32EdEEviiiPKT0_S3_S3_PS1_ ; -- Begin function _ZN9rocsparseL49gtsv_nopivot_strided_batch_pcr_pow2_shared_kernelILj32EdEEviiiPKT0_S3_S3_PS1_
	.p2align	8
	.type	_ZN9rocsparseL49gtsv_nopivot_strided_batch_pcr_pow2_shared_kernelILj32EdEEviiiPKT0_S3_S3_PS1_,@function
_ZN9rocsparseL49gtsv_nopivot_strided_batch_pcr_pow2_shared_kernelILj32EdEEviiiPKT0_S3_S3_PS1_: ; @_ZN9rocsparseL49gtsv_nopivot_strided_batch_pcr_pow2_shared_kernelILj32EdEEviiiPKT0_S3_S3_PS1_
; %bb.0:
	s_load_dword s3, s[0:1], 0x8
	s_load_dwordx8 s[4:11], s[0:1], 0x10
	v_min_u32_e32 v12, 30, v0
	v_sub_u32_e64 v13, v0, 1 clamp
	v_lshlrev_b32_e32 v1, 3, v0
	s_waitcnt lgkmcnt(0)
	s_mul_i32 s3, s3, s2
	v_add_u32_e32 v2, s3, v0
	v_ashrrev_i32_e32 v3, 31, v2
	v_lshlrev_b64 v[2:3], 3, v[2:3]
	v_lshl_add_u64 v[4:5], s[4:5], 0, v[2:3]
	v_lshl_add_u64 v[6:7], s[6:7], 0, v[2:3]
	global_load_dwordx2 v[8:9], v[4:5], off
	global_load_dwordx2 v[10:11], v[6:7], off
	v_lshl_add_u64 v[4:5], s[8:9], 0, v[2:3]
	v_lshl_add_u64 v[2:3], s[10:11], 0, v[2:3]
	global_load_dwordx2 v[4:5], v[4:5], off
	v_min_u32_e32 v14, 29, v0
	global_load_dwordx2 v[6:7], v[2:3], off
	v_sub_u32_e64 v15, v0, 2 clamp
	v_min_u32_e32 v16, 27, v0
	v_sub_u32_e64 v17, v0, 4 clamp
	v_lshlrev_b32_e32 v20, 3, v13
	v_lshlrev_b32_e32 v24, 3, v12
	;; [unrolled: 1-line block ×6, first 2 shown]
	s_waitcnt vmcnt(2)
	ds_write2_b64 v1, v[8:9], v[10:11] offset1:34
	s_waitcnt vmcnt(0)
	ds_write2_b64 v1, v[4:5], v[6:7] offset0:68 offset1:136
	s_waitcnt lgkmcnt(0)
	; wave barrier
	ds_read2_b64 v[4:7], v1 offset1:34
	ds_read2_b64 v[8:11], v20 offset1:34
	ds_read2_b64 v[12:15], v1 offset0:68 offset1:136
	ds_read2_b64 v[16:19], v24 offset0:1 offset1:35
	;; [unrolled: 1-line block ×4, first 2 shown]
	s_waitcnt lgkmcnt(4)
	v_div_scale_f64 v[28:29], s[0:1], v[10:11], v[10:11], v[4:5]
	s_waitcnt lgkmcnt(2)
	v_div_scale_f64 v[32:33], s[0:1], v[18:19], v[18:19], v[12:13]
	v_rcp_f64_e32 v[34:35], v[28:29]
	v_rcp_f64_e32 v[36:37], v[32:33]
	v_div_scale_f64 v[30:31], vcc, v[4:5], v[10:11], v[4:5]
	v_fma_f64 v[40:41], -v[28:29], v[34:35], 1.0
	v_fma_f64 v[42:43], -v[32:33], v[36:37], 1.0
	v_fmac_f64_e32 v[34:35], v[34:35], v[40:41]
	v_fmac_f64_e32 v[36:37], v[36:37], v[42:43]
	v_fma_f64 v[40:41], -v[28:29], v[34:35], 1.0
	v_fma_f64 v[42:43], -v[32:33], v[36:37], 1.0
	v_fmac_f64_e32 v[34:35], v[34:35], v[40:41]
	v_div_scale_f64 v[38:39], s[0:1], v[12:13], v[18:19], v[12:13]
	v_fmac_f64_e32 v[36:37], v[36:37], v[42:43]
	v_mul_f64 v[40:41], v[30:31], v[34:35]
	v_mul_f64 v[42:43], v[38:39], v[36:37]
	v_fma_f64 v[28:29], -v[28:29], v[40:41], v[30:31]
	v_fma_f64 v[30:31], -v[32:33], v[42:43], v[38:39]
	v_div_fmas_f64 v[28:29], v[28:29], v[34:35], v[40:41]
	s_mov_b64 vcc, s[0:1]
	v_div_fixup_f64 v[4:5], v[28:29], v[10:11], v[4:5]
	v_div_fmas_f64 v[10:11], v[30:31], v[36:37], v[42:43]
	v_div_fixup_f64 v[10:11], v[10:11], v[18:19], v[12:13]
	s_waitcnt lgkmcnt(1)
	v_fma_f64 v[6:7], -v[4:5], v[20:21], v[6:7]
	v_fma_f64 v[12:13], -v[4:5], v[22:23], v[14:15]
	v_mul_f64 v[4:5], v[4:5], -v[8:9]
	v_fma_f64 v[6:7], -v[10:11], v[16:17], v[6:7]
	s_waitcnt lgkmcnt(0)
	v_fma_f64 v[8:9], -v[10:11], v[26:27], v[12:13]
	v_mul_f64 v[10:11], v[10:11], -v[24:25]
	; wave barrier
	ds_write2_b64 v1, v[4:5], v[6:7] offset1:34
	ds_write2_b64 v1, v[10:11], v[8:9] offset0:68 offset1:136
	s_waitcnt lgkmcnt(0)
	; wave barrier
	ds_read2_b64 v[4:7], v1 offset1:34
	ds_read2_b64 v[8:11], v44 offset1:34
	ds_read2_b64 v[12:15], v1 offset0:68 offset1:136
	ds_read2_b64 v[16:19], v45 offset0:2 offset1:36
	;; [unrolled: 1-line block ×4, first 2 shown]
	s_waitcnt lgkmcnt(4)
	v_div_scale_f64 v[28:29], s[0:1], v[10:11], v[10:11], v[4:5]
	s_waitcnt lgkmcnt(2)
	v_div_scale_f64 v[32:33], s[0:1], v[18:19], v[18:19], v[12:13]
	v_rcp_f64_e32 v[34:35], v[28:29]
	v_rcp_f64_e32 v[36:37], v[32:33]
	v_div_scale_f64 v[30:31], vcc, v[4:5], v[10:11], v[4:5]
	v_fma_f64 v[40:41], -v[28:29], v[34:35], 1.0
	v_fma_f64 v[42:43], -v[32:33], v[36:37], 1.0
	v_fmac_f64_e32 v[34:35], v[34:35], v[40:41]
	v_fmac_f64_e32 v[36:37], v[36:37], v[42:43]
	v_fma_f64 v[40:41], -v[28:29], v[34:35], 1.0
	v_fma_f64 v[42:43], -v[32:33], v[36:37], 1.0
	v_fmac_f64_e32 v[34:35], v[34:35], v[40:41]
	v_div_scale_f64 v[38:39], s[0:1], v[12:13], v[18:19], v[12:13]
	v_fmac_f64_e32 v[36:37], v[36:37], v[42:43]
	v_mul_f64 v[40:41], v[30:31], v[34:35]
	v_mul_f64 v[42:43], v[38:39], v[36:37]
	v_fma_f64 v[28:29], -v[28:29], v[40:41], v[30:31]
	v_fma_f64 v[30:31], -v[32:33], v[42:43], v[38:39]
	v_div_fmas_f64 v[28:29], v[28:29], v[34:35], v[40:41]
	s_mov_b64 vcc, s[0:1]
	v_div_fixup_f64 v[4:5], v[28:29], v[10:11], v[4:5]
	v_div_fmas_f64 v[10:11], v[30:31], v[36:37], v[42:43]
	v_div_fixup_f64 v[10:11], v[10:11], v[18:19], v[12:13]
	s_waitcnt lgkmcnt(1)
	v_fma_f64 v[6:7], -v[4:5], v[20:21], v[6:7]
	v_fma_f64 v[12:13], -v[4:5], v[22:23], v[14:15]
	v_mul_f64 v[4:5], v[4:5], -v[8:9]
	v_fma_f64 v[6:7], -v[10:11], v[16:17], v[6:7]
	s_waitcnt lgkmcnt(0)
	v_fma_f64 v[8:9], -v[10:11], v[26:27], v[12:13]
	v_mul_f64 v[10:11], v[10:11], -v[24:25]
	; wave barrier
	ds_write2_b64 v1, v[4:5], v[6:7] offset1:34
	ds_write2_b64 v1, v[10:11], v[8:9] offset0:68 offset1:136
	s_waitcnt lgkmcnt(0)
	; wave barrier
	ds_read2_b64 v[4:7], v1 offset1:34
	ds_read2_b64 v[8:11], v46 offset1:34
	ds_read2_b64 v[12:15], v1 offset0:68 offset1:136
	ds_read2_b64 v[16:19], v47 offset0:4 offset1:38
	s_waitcnt lgkmcnt(2)
	v_div_scale_f64 v[20:21], s[0:1], v[10:11], v[10:11], v[4:5]
	v_rcp_f64_e32 v[24:25], v[20:21]
	s_waitcnt lgkmcnt(0)
	v_div_scale_f64 v[22:23], s[0:1], v[18:19], v[18:19], v[12:13]
	v_rcp_f64_e32 v[26:27], v[22:23]
	v_fma_f64 v[30:31], -v[20:21], v[24:25], 1.0
	v_fmac_f64_e32 v[24:25], v[24:25], v[30:31]
	v_fma_f64 v[30:31], -v[20:21], v[24:25], 1.0
	v_div_scale_f64 v[28:29], vcc, v[4:5], v[10:11], v[4:5]
	v_fmac_f64_e32 v[24:25], v[24:25], v[30:31]
	v_mul_f64 v[30:31], v[28:29], v[24:25]
	v_fma_f64 v[32:33], -v[22:23], v[26:27], 1.0
	v_fma_f64 v[20:21], -v[20:21], v[30:31], v[28:29]
	v_fmac_f64_e32 v[26:27], v[26:27], v[32:33]
	v_div_fmas_f64 v[20:21], v[20:21], v[24:25], v[30:31]
	v_div_fixup_f64 v[4:5], v[20:21], v[10:11], v[4:5]
	v_fma_f64 v[10:11], -v[22:23], v[26:27], 1.0
	v_fmac_f64_e32 v[26:27], v[26:27], v[10:11]
	v_div_scale_f64 v[10:11], vcc, v[12:13], v[18:19], v[12:13]
	v_mul_f64 v[24:25], v[10:11], v[26:27]
	v_fma_f64 v[10:11], -v[22:23], v[24:25], v[10:11]
	ds_read2_b64 v[20:23], v46 offset0:68 offset1:136
	s_nop 0
	v_div_fmas_f64 v[10:11], v[10:11], v[26:27], v[24:25]
	ds_read2_b64 v[24:27], v47 offset0:72 offset1:140
	v_div_fixup_f64 v[10:11], v[10:11], v[18:19], v[12:13]
	s_waitcnt lgkmcnt(0)
	v_fma_f64 v[6:7], -v[4:5], v[20:21], v[6:7]
	v_fma_f64 v[6:7], -v[10:11], v[16:17], v[6:7]
	;; [unrolled: 1-line block ×3, first 2 shown]
	v_mul_f64 v[4:5], v[4:5], -v[8:9]
	v_mul_f64 v[8:9], v[10:11], -v[24:25]
	v_fma_f64 v[12:13], -v[10:11], v[26:27], v[12:13]
	; wave barrier
	ds_write2_b64 v1, v[4:5], v[6:7] offset1:34
	ds_write2_b64 v1, v[8:9], v[12:13] offset0:68 offset1:136
	v_sub_u32_e64 v8, v0, 8 clamp
	v_lshlrev_b32_e32 v30, 3, v8
	s_waitcnt lgkmcnt(0)
	; wave barrier
	ds_read2_b64 v[4:7], v1 offset1:34
	ds_read2_b64 v[8:11], v30 offset1:34
	v_min_u32_e32 v16, 23, v0
	v_lshlrev_b32_e32 v31, 3, v16
	ds_read2_b64 v[16:19], v31 offset0:8 offset1:42
	s_waitcnt lgkmcnt(1)
	v_div_scale_f64 v[20:21], s[0:1], v[10:11], v[10:11], v[4:5]
	v_rcp_f64_e32 v[22:23], v[20:21]
	v_div_scale_f64 v[24:25], vcc, v[4:5], v[10:11], v[4:5]
	v_fma_f64 v[12:13], -v[20:21], v[22:23], 1.0
	v_fmac_f64_e32 v[22:23], v[22:23], v[12:13]
	v_fma_f64 v[12:13], -v[20:21], v[22:23], 1.0
	v_fmac_f64_e32 v[22:23], v[22:23], v[12:13]
	ds_read2_b64 v[12:15], v1 offset0:68 offset1:136
	v_mul_f64 v[26:27], v[24:25], v[22:23]
	v_fma_f64 v[20:21], -v[20:21], v[26:27], v[24:25]
	v_div_fmas_f64 v[20:21], v[20:21], v[22:23], v[26:27]
	v_div_fixup_f64 v[4:5], v[20:21], v[10:11], v[4:5]
	s_waitcnt lgkmcnt(0)
	v_div_scale_f64 v[24:25], s[0:1], v[18:19], v[18:19], v[12:13]
	v_rcp_f64_e32 v[28:29], v[24:25]
	ds_read2_b64 v[20:23], v30 offset0:68 offset1:136
	v_fma_f64 v[10:11], -v[24:25], v[28:29], 1.0
	v_fmac_f64_e32 v[28:29], v[28:29], v[10:11]
	v_fma_f64 v[10:11], -v[24:25], v[28:29], 1.0
	v_fmac_f64_e32 v[28:29], v[28:29], v[10:11]
	v_div_scale_f64 v[10:11], vcc, v[12:13], v[18:19], v[12:13]
	v_mul_f64 v[26:27], v[10:11], v[28:29]
	v_fma_f64 v[10:11], -v[24:25], v[26:27], v[10:11]
	s_waitcnt lgkmcnt(0)
	v_fma_f64 v[6:7], -v[4:5], v[20:21], v[6:7]
	v_div_fmas_f64 v[10:11], v[10:11], v[28:29], v[26:27]
	ds_read2_b64 v[24:27], v31 offset0:76 offset1:144
	v_div_fixup_f64 v[10:11], v[10:11], v[18:19], v[12:13]
	v_fma_f64 v[6:7], -v[10:11], v[16:17], v[6:7]
	v_fma_f64 v[12:13], -v[4:5], v[22:23], v[14:15]
	v_mul_f64 v[4:5], v[4:5], -v[8:9]
	v_cmp_gt_u32_e32 vcc, 16, v0
	s_waitcnt lgkmcnt(0)
	v_fma_f64 v[12:13], -v[10:11], v[26:27], v[12:13]
	v_mul_f64 v[8:9], v[10:11], -v[24:25]
	; wave barrier
	ds_write2_b64 v1, v[4:5], v[6:7] offset1:34
	ds_write2_b64 v1, v[8:9], v[12:13] offset0:68 offset1:136
	s_waitcnt lgkmcnt(0)
	; wave barrier
	s_and_saveexec_b64 s[0:1], vcc
	s_cbranch_execz .LBB25_2
; %bb.1:
	v_add_u32_e32 v4, 0x220, v1
	v_add_u32_e32 v0, 0x110, v1
	ds_read_b64 v[12:13], v4
	ds_read_b64 v[14:15], v1 offset:128
	ds_read2_b64 v[4:7], v0 offset1:16
	v_add_u32_e32 v0, 0x440, v1
	s_waitcnt lgkmcnt(1)
	v_mul_f64 v[8:9], v[12:13], v[14:15]
	s_waitcnt lgkmcnt(0)
	v_fma_f64 v[16:17], v[6:7], v[4:5], -v[8:9]
	v_div_scale_f64 v[18:19], s[2:3], v[16:17], v[16:17], 1.0
	v_rcp_f64_e32 v[20:21], v[18:19]
	v_div_scale_f64 v[22:23], vcc, 1.0, v[16:17], 1.0
	v_fma_f64 v[8:9], -v[18:19], v[20:21], 1.0
	v_fmac_f64_e32 v[20:21], v[20:21], v[8:9]
	v_fma_f64 v[8:9], -v[18:19], v[20:21], 1.0
	v_fmac_f64_e32 v[20:21], v[20:21], v[8:9]
	ds_read2_b64 v[8:11], v0 offset1:16
	v_mul_f64 v[24:25], v[22:23], v[20:21]
	v_fma_f64 v[18:19], -v[18:19], v[24:25], v[22:23]
	v_div_fmas_f64 v[18:19], v[18:19], v[20:21], v[24:25]
	v_div_fixup_f64 v[16:17], v[18:19], v[16:17], 1.0
	s_waitcnt lgkmcnt(0)
	v_mul_f64 v[12:13], v[12:13], v[10:11]
	v_fma_f64 v[6:7], v[6:7], v[8:9], -v[12:13]
	v_mul_f64 v[8:9], v[14:15], v[8:9]
	v_fma_f64 v[4:5], v[4:5], v[10:11], -v[8:9]
	v_mul_f64 v[6:7], v[16:17], v[6:7]
	v_mul_f64 v[4:5], v[16:17], v[4:5]
	ds_write2_b64 v1, v[6:7], v[4:5] offset0:102 offset1:118
.LBB25_2:
	s_or_b64 exec, exec, s[0:1]
	s_waitcnt lgkmcnt(0)
	; wave barrier
	ds_read_b64 v[0:1], v1 offset:816
	s_waitcnt lgkmcnt(0)
	global_store_dwordx2 v[2:3], v[0:1], off
	s_endpgm
	.section	.rodata,"a",@progbits
	.p2align	6, 0x0
	.amdhsa_kernel _ZN9rocsparseL49gtsv_nopivot_strided_batch_pcr_pow2_shared_kernelILj32EdEEviiiPKT0_S3_S3_PS1_
		.amdhsa_group_segment_fixed_size 1352
		.amdhsa_private_segment_fixed_size 0
		.amdhsa_kernarg_size 48
		.amdhsa_user_sgpr_count 2
		.amdhsa_user_sgpr_dispatch_ptr 0
		.amdhsa_user_sgpr_queue_ptr 0
		.amdhsa_user_sgpr_kernarg_segment_ptr 1
		.amdhsa_user_sgpr_dispatch_id 0
		.amdhsa_user_sgpr_kernarg_preload_length 0
		.amdhsa_user_sgpr_kernarg_preload_offset 0
		.amdhsa_user_sgpr_private_segment_size 0
		.amdhsa_uses_dynamic_stack 0
		.amdhsa_enable_private_segment 0
		.amdhsa_system_sgpr_workgroup_id_x 1
		.amdhsa_system_sgpr_workgroup_id_y 0
		.amdhsa_system_sgpr_workgroup_id_z 0
		.amdhsa_system_sgpr_workgroup_info 0
		.amdhsa_system_vgpr_workitem_id 0
		.amdhsa_next_free_vgpr 48
		.amdhsa_next_free_sgpr 12
		.amdhsa_accum_offset 48
		.amdhsa_reserve_vcc 1
		.amdhsa_float_round_mode_32 0
		.amdhsa_float_round_mode_16_64 0
		.amdhsa_float_denorm_mode_32 3
		.amdhsa_float_denorm_mode_16_64 3
		.amdhsa_dx10_clamp 1
		.amdhsa_ieee_mode 1
		.amdhsa_fp16_overflow 0
		.amdhsa_tg_split 0
		.amdhsa_exception_fp_ieee_invalid_op 0
		.amdhsa_exception_fp_denorm_src 0
		.amdhsa_exception_fp_ieee_div_zero 0
		.amdhsa_exception_fp_ieee_overflow 0
		.amdhsa_exception_fp_ieee_underflow 0
		.amdhsa_exception_fp_ieee_inexact 0
		.amdhsa_exception_int_div_zero 0
	.end_amdhsa_kernel
	.section	.text._ZN9rocsparseL49gtsv_nopivot_strided_batch_pcr_pow2_shared_kernelILj32EdEEviiiPKT0_S3_S3_PS1_,"axG",@progbits,_ZN9rocsparseL49gtsv_nopivot_strided_batch_pcr_pow2_shared_kernelILj32EdEEviiiPKT0_S3_S3_PS1_,comdat
.Lfunc_end25:
	.size	_ZN9rocsparseL49gtsv_nopivot_strided_batch_pcr_pow2_shared_kernelILj32EdEEviiiPKT0_S3_S3_PS1_, .Lfunc_end25-_ZN9rocsparseL49gtsv_nopivot_strided_batch_pcr_pow2_shared_kernelILj32EdEEviiiPKT0_S3_S3_PS1_
                                        ; -- End function
	.set _ZN9rocsparseL49gtsv_nopivot_strided_batch_pcr_pow2_shared_kernelILj32EdEEviiiPKT0_S3_S3_PS1_.num_vgpr, 48
	.set _ZN9rocsparseL49gtsv_nopivot_strided_batch_pcr_pow2_shared_kernelILj32EdEEviiiPKT0_S3_S3_PS1_.num_agpr, 0
	.set _ZN9rocsparseL49gtsv_nopivot_strided_batch_pcr_pow2_shared_kernelILj32EdEEviiiPKT0_S3_S3_PS1_.numbered_sgpr, 12
	.set _ZN9rocsparseL49gtsv_nopivot_strided_batch_pcr_pow2_shared_kernelILj32EdEEviiiPKT0_S3_S3_PS1_.num_named_barrier, 0
	.set _ZN9rocsparseL49gtsv_nopivot_strided_batch_pcr_pow2_shared_kernelILj32EdEEviiiPKT0_S3_S3_PS1_.private_seg_size, 0
	.set _ZN9rocsparseL49gtsv_nopivot_strided_batch_pcr_pow2_shared_kernelILj32EdEEviiiPKT0_S3_S3_PS1_.uses_vcc, 1
	.set _ZN9rocsparseL49gtsv_nopivot_strided_batch_pcr_pow2_shared_kernelILj32EdEEviiiPKT0_S3_S3_PS1_.uses_flat_scratch, 0
	.set _ZN9rocsparseL49gtsv_nopivot_strided_batch_pcr_pow2_shared_kernelILj32EdEEviiiPKT0_S3_S3_PS1_.has_dyn_sized_stack, 0
	.set _ZN9rocsparseL49gtsv_nopivot_strided_batch_pcr_pow2_shared_kernelILj32EdEEviiiPKT0_S3_S3_PS1_.has_recursion, 0
	.set _ZN9rocsparseL49gtsv_nopivot_strided_batch_pcr_pow2_shared_kernelILj32EdEEviiiPKT0_S3_S3_PS1_.has_indirect_call, 0
	.section	.AMDGPU.csdata,"",@progbits
; Kernel info:
; codeLenInByte = 1620
; TotalNumSgprs: 18
; NumVgprs: 48
; NumAgprs: 0
; TotalNumVgprs: 48
; ScratchSize: 0
; MemoryBound: 1
; FloatMode: 240
; IeeeMode: 1
; LDSByteSize: 1352 bytes/workgroup (compile time only)
; SGPRBlocks: 2
; VGPRBlocks: 5
; NumSGPRsForWavesPerEU: 18
; NumVGPRsForWavesPerEU: 48
; AccumOffset: 48
; Occupancy: 8
; WaveLimiterHint : 1
; COMPUTE_PGM_RSRC2:SCRATCH_EN: 0
; COMPUTE_PGM_RSRC2:USER_SGPR: 2
; COMPUTE_PGM_RSRC2:TRAP_HANDLER: 0
; COMPUTE_PGM_RSRC2:TGID_X_EN: 1
; COMPUTE_PGM_RSRC2:TGID_Y_EN: 0
; COMPUTE_PGM_RSRC2:TGID_Z_EN: 0
; COMPUTE_PGM_RSRC2:TIDIG_COMP_CNT: 0
; COMPUTE_PGM_RSRC3_GFX90A:ACCUM_OFFSET: 11
; COMPUTE_PGM_RSRC3_GFX90A:TG_SPLIT: 0
	.section	.text._ZN9rocsparseL49gtsv_nopivot_strided_batch_pcr_pow2_shared_kernelILj64EdEEviiiPKT0_S3_S3_PS1_,"axG",@progbits,_ZN9rocsparseL49gtsv_nopivot_strided_batch_pcr_pow2_shared_kernelILj64EdEEviiiPKT0_S3_S3_PS1_,comdat
	.globl	_ZN9rocsparseL49gtsv_nopivot_strided_batch_pcr_pow2_shared_kernelILj64EdEEviiiPKT0_S3_S3_PS1_ ; -- Begin function _ZN9rocsparseL49gtsv_nopivot_strided_batch_pcr_pow2_shared_kernelILj64EdEEviiiPKT0_S3_S3_PS1_
	.p2align	8
	.type	_ZN9rocsparseL49gtsv_nopivot_strided_batch_pcr_pow2_shared_kernelILj64EdEEviiiPKT0_S3_S3_PS1_,@function
_ZN9rocsparseL49gtsv_nopivot_strided_batch_pcr_pow2_shared_kernelILj64EdEEviiiPKT0_S3_S3_PS1_: ; @_ZN9rocsparseL49gtsv_nopivot_strided_batch_pcr_pow2_shared_kernelILj64EdEEviiiPKT0_S3_S3_PS1_
; %bb.0:
	s_load_dword s3, s[0:1], 0x8
	s_load_dwordx8 s[4:11], s[0:1], 0x10
	v_min_u32_e32 v12, 62, v0
	v_sub_u32_e64 v13, v0, 1 clamp
	v_lshlrev_b32_e32 v13, 3, v13
	s_waitcnt lgkmcnt(0)
	s_mul_i32 s3, s3, s2
	v_add_u32_e32 v2, s3, v0
	v_ashrrev_i32_e32 v3, 31, v2
	v_lshlrev_b64 v[2:3], 3, v[2:3]
	v_lshl_add_u64 v[4:5], s[4:5], 0, v[2:3]
	v_lshl_add_u64 v[6:7], s[6:7], 0, v[2:3]
	global_load_dwordx2 v[8:9], v[4:5], off
	global_load_dwordx2 v[10:11], v[6:7], off
	v_lshl_add_u64 v[4:5], s[8:9], 0, v[2:3]
	v_lshl_add_u64 v[2:3], s[10:11], 0, v[2:3]
	global_load_dwordx2 v[4:5], v[4:5], off
	v_lshlrev_b32_e32 v17, 3, v12
	global_load_dwordx2 v[6:7], v[2:3], off
	v_lshlrev_b32_e32 v1, 3, v0
	v_min_u32_e32 v14, 61, v0
	v_sub_u32_e64 v15, v0, 2 clamp
	v_sub_u32_e64 v16, v0, 4 clamp
	v_add_u32_e32 v20, 0x400, v13
	v_add_u32_e32 v24, 0x400, v17
	;; [unrolled: 1-line block ×3, first 2 shown]
	v_lshlrev_b32_e32 v45, 3, v15
	v_lshlrev_b32_e32 v46, 3, v14
	;; [unrolled: 1-line block ×3, first 2 shown]
	v_add_u32_e32 v48, 0x400, v45
	v_add_u32_e32 v49, 0x400, v46
	s_waitcnt vmcnt(2)
	ds_write2_b64 v1, v[8:9], v[10:11] offset1:66
	s_waitcnt vmcnt(0)
	ds_write2_b64 v44, v[4:5], v[6:7] offset0:4 offset1:136
	s_waitcnt lgkmcnt(0)
	; wave barrier
	ds_read2_b64 v[4:7], v1 offset1:66
	ds_read2_b64 v[8:11], v13 offset1:66
	ds_read2_b64 v[12:15], v44 offset0:4 offset1:136
	ds_read2_b64 v[16:19], v17 offset0:1 offset1:67
	;; [unrolled: 1-line block ×4, first 2 shown]
	s_waitcnt lgkmcnt(4)
	v_div_scale_f64 v[28:29], s[0:1], v[10:11], v[10:11], v[4:5]
	s_waitcnt lgkmcnt(2)
	v_div_scale_f64 v[32:33], s[0:1], v[18:19], v[18:19], v[12:13]
	v_rcp_f64_e32 v[34:35], v[28:29]
	v_rcp_f64_e32 v[36:37], v[32:33]
	v_div_scale_f64 v[30:31], vcc, v[4:5], v[10:11], v[4:5]
	v_fma_f64 v[40:41], -v[28:29], v[34:35], 1.0
	v_fma_f64 v[42:43], -v[32:33], v[36:37], 1.0
	v_fmac_f64_e32 v[34:35], v[34:35], v[40:41]
	v_fmac_f64_e32 v[36:37], v[36:37], v[42:43]
	v_fma_f64 v[40:41], -v[28:29], v[34:35], 1.0
	v_fma_f64 v[42:43], -v[32:33], v[36:37], 1.0
	v_fmac_f64_e32 v[34:35], v[34:35], v[40:41]
	v_div_scale_f64 v[38:39], s[0:1], v[12:13], v[18:19], v[12:13]
	v_fmac_f64_e32 v[36:37], v[36:37], v[42:43]
	v_mul_f64 v[40:41], v[30:31], v[34:35]
	v_mul_f64 v[42:43], v[38:39], v[36:37]
	v_fma_f64 v[28:29], -v[28:29], v[40:41], v[30:31]
	v_fma_f64 v[30:31], -v[32:33], v[42:43], v[38:39]
	v_div_fmas_f64 v[28:29], v[28:29], v[34:35], v[40:41]
	s_mov_b64 vcc, s[0:1]
	v_div_fixup_f64 v[4:5], v[28:29], v[10:11], v[4:5]
	v_div_fmas_f64 v[10:11], v[30:31], v[36:37], v[42:43]
	v_div_fixup_f64 v[10:11], v[10:11], v[18:19], v[12:13]
	s_waitcnt lgkmcnt(1)
	v_fma_f64 v[6:7], -v[4:5], v[20:21], v[6:7]
	v_fma_f64 v[12:13], -v[4:5], v[22:23], v[14:15]
	v_mul_f64 v[4:5], v[4:5], -v[8:9]
	v_fma_f64 v[6:7], -v[10:11], v[16:17], v[6:7]
	s_waitcnt lgkmcnt(0)
	v_fma_f64 v[8:9], -v[10:11], v[26:27], v[12:13]
	v_mul_f64 v[10:11], v[10:11], -v[24:25]
	; wave barrier
	ds_write2_b64 v1, v[4:5], v[6:7] offset1:66
	ds_write2_b64 v44, v[10:11], v[8:9] offset0:4 offset1:136
	s_waitcnt lgkmcnt(0)
	; wave barrier
	ds_read2_b64 v[4:7], v1 offset1:66
	ds_read2_b64 v[8:11], v45 offset1:66
	ds_read2_b64 v[12:15], v44 offset0:4 offset1:136
	ds_read2_b64 v[16:19], v46 offset0:2 offset1:68
	;; [unrolled: 1-line block ×4, first 2 shown]
	s_waitcnt lgkmcnt(4)
	v_div_scale_f64 v[28:29], s[0:1], v[10:11], v[10:11], v[4:5]
	s_waitcnt lgkmcnt(2)
	v_div_scale_f64 v[32:33], s[0:1], v[18:19], v[18:19], v[12:13]
	v_rcp_f64_e32 v[34:35], v[28:29]
	v_rcp_f64_e32 v[36:37], v[32:33]
	v_div_scale_f64 v[30:31], vcc, v[4:5], v[10:11], v[4:5]
	v_fma_f64 v[40:41], -v[28:29], v[34:35], 1.0
	v_fma_f64 v[42:43], -v[32:33], v[36:37], 1.0
	v_fmac_f64_e32 v[34:35], v[34:35], v[40:41]
	v_fmac_f64_e32 v[36:37], v[36:37], v[42:43]
	v_fma_f64 v[40:41], -v[28:29], v[34:35], 1.0
	v_fma_f64 v[42:43], -v[32:33], v[36:37], 1.0
	v_fmac_f64_e32 v[34:35], v[34:35], v[40:41]
	v_div_scale_f64 v[38:39], s[0:1], v[12:13], v[18:19], v[12:13]
	v_fmac_f64_e32 v[36:37], v[36:37], v[42:43]
	v_mul_f64 v[40:41], v[30:31], v[34:35]
	v_mul_f64 v[42:43], v[38:39], v[36:37]
	v_fma_f64 v[28:29], -v[28:29], v[40:41], v[30:31]
	v_fma_f64 v[30:31], -v[32:33], v[42:43], v[38:39]
	v_div_fmas_f64 v[28:29], v[28:29], v[34:35], v[40:41]
	s_mov_b64 vcc, s[0:1]
	v_div_fixup_f64 v[4:5], v[28:29], v[10:11], v[4:5]
	v_div_fmas_f64 v[10:11], v[30:31], v[36:37], v[42:43]
	v_div_fixup_f64 v[10:11], v[10:11], v[18:19], v[12:13]
	s_waitcnt lgkmcnt(1)
	v_fma_f64 v[6:7], -v[4:5], v[20:21], v[6:7]
	v_fma_f64 v[12:13], -v[4:5], v[22:23], v[14:15]
	v_mul_f64 v[4:5], v[4:5], -v[8:9]
	v_fma_f64 v[6:7], -v[10:11], v[16:17], v[6:7]
	s_waitcnt lgkmcnt(0)
	v_fma_f64 v[8:9], -v[10:11], v[26:27], v[12:13]
	v_mul_f64 v[10:11], v[10:11], -v[24:25]
	; wave barrier
	ds_write2_b64 v1, v[4:5], v[6:7] offset1:66
	ds_write2_b64 v44, v[10:11], v[8:9] offset0:4 offset1:136
	s_waitcnt lgkmcnt(0)
	; wave barrier
	ds_read2_b64 v[4:7], v1 offset1:66
	ds_read2_b64 v[8:11], v47 offset1:66
	v_min_u32_e32 v12, 59, v0
	v_lshlrev_b32_e32 v30, 3, v12
	ds_read2_b64 v[12:15], v44 offset0:4 offset1:136
	ds_read2_b64 v[16:19], v30 offset0:4 offset1:70
	s_waitcnt lgkmcnt(2)
	v_div_scale_f64 v[20:21], s[0:1], v[10:11], v[10:11], v[4:5]
	v_rcp_f64_e32 v[22:23], v[20:21]
	v_div_scale_f64 v[24:25], vcc, v[4:5], v[10:11], v[4:5]
	v_fma_f64 v[26:27], -v[20:21], v[22:23], 1.0
	v_fmac_f64_e32 v[22:23], v[22:23], v[26:27]
	v_fma_f64 v[26:27], -v[20:21], v[22:23], 1.0
	v_fmac_f64_e32 v[22:23], v[22:23], v[26:27]
	v_mul_f64 v[26:27], v[24:25], v[22:23]
	v_fma_f64 v[20:21], -v[20:21], v[26:27], v[24:25]
	s_waitcnt lgkmcnt(0)
	v_div_scale_f64 v[24:25], s[0:1], v[18:19], v[18:19], v[12:13]
	v_rcp_f64_e32 v[28:29], v[24:25]
	v_div_fmas_f64 v[20:21], v[20:21], v[22:23], v[26:27]
	v_div_fixup_f64 v[4:5], v[20:21], v[10:11], v[4:5]
	v_add_u32_e32 v20, 0x400, v47
	v_fma_f64 v[10:11], -v[24:25], v[28:29], 1.0
	v_fmac_f64_e32 v[28:29], v[28:29], v[10:11]
	v_fma_f64 v[10:11], -v[24:25], v[28:29], 1.0
	v_fmac_f64_e32 v[28:29], v[28:29], v[10:11]
	v_div_scale_f64 v[10:11], vcc, v[12:13], v[18:19], v[12:13]
	v_mul_f64 v[26:27], v[10:11], v[28:29]
	v_fma_f64 v[10:11], -v[24:25], v[26:27], v[10:11]
	ds_read2_b64 v[20:23], v20 offset0:4 offset1:136
	v_add_u32_e32 v24, 0x400, v30
	v_div_fmas_f64 v[10:11], v[10:11], v[28:29], v[26:27]
	ds_read2_b64 v[24:27], v24 offset0:8 offset1:140
	v_div_fixup_f64 v[10:11], v[10:11], v[18:19], v[12:13]
	s_waitcnt lgkmcnt(1)
	v_fma_f64 v[6:7], -v[4:5], v[20:21], v[6:7]
	v_fma_f64 v[6:7], -v[10:11], v[16:17], v[6:7]
	;; [unrolled: 1-line block ×3, first 2 shown]
	v_mul_f64 v[4:5], v[4:5], -v[8:9]
	s_waitcnt lgkmcnt(0)
	v_mul_f64 v[8:9], v[10:11], -v[24:25]
	v_fma_f64 v[12:13], -v[10:11], v[26:27], v[12:13]
	; wave barrier
	ds_write2_b64 v1, v[4:5], v[6:7] offset1:66
	ds_write2_b64 v44, v[8:9], v[12:13] offset0:4 offset1:136
	v_sub_u32_e64 v8, v0, 8 clamp
	v_lshlrev_b32_e32 v30, 3, v8
	s_waitcnt lgkmcnt(0)
	; wave barrier
	ds_read2_b64 v[4:7], v1 offset1:66
	ds_read2_b64 v[8:11], v30 offset1:66
	v_min_u32_e32 v16, 55, v0
	v_lshlrev_b32_e32 v31, 3, v16
	ds_read2_b64 v[16:19], v31 offset0:8 offset1:74
	s_waitcnt lgkmcnt(1)
	v_div_scale_f64 v[20:21], s[0:1], v[10:11], v[10:11], v[4:5]
	v_rcp_f64_e32 v[22:23], v[20:21]
	v_div_scale_f64 v[24:25], vcc, v[4:5], v[10:11], v[4:5]
	v_fma_f64 v[12:13], -v[20:21], v[22:23], 1.0
	v_fmac_f64_e32 v[22:23], v[22:23], v[12:13]
	v_fma_f64 v[12:13], -v[20:21], v[22:23], 1.0
	v_fmac_f64_e32 v[22:23], v[22:23], v[12:13]
	ds_read2_b64 v[12:15], v44 offset0:4 offset1:136
	v_mul_f64 v[26:27], v[24:25], v[22:23]
	v_fma_f64 v[20:21], -v[20:21], v[26:27], v[24:25]
	v_div_fmas_f64 v[20:21], v[20:21], v[22:23], v[26:27]
	v_div_fixup_f64 v[4:5], v[20:21], v[10:11], v[4:5]
	s_waitcnt lgkmcnt(0)
	v_div_scale_f64 v[24:25], s[0:1], v[18:19], v[18:19], v[12:13]
	v_rcp_f64_e32 v[28:29], v[24:25]
	v_add_u32_e32 v20, 0x400, v30
	ds_read2_b64 v[20:23], v20 offset0:4 offset1:136
	v_fma_f64 v[10:11], -v[24:25], v[28:29], 1.0
	v_fmac_f64_e32 v[28:29], v[28:29], v[10:11]
	v_fma_f64 v[10:11], -v[24:25], v[28:29], 1.0
	v_fmac_f64_e32 v[28:29], v[28:29], v[10:11]
	v_div_scale_f64 v[10:11], vcc, v[12:13], v[18:19], v[12:13]
	v_mul_f64 v[26:27], v[10:11], v[28:29]
	v_fma_f64 v[10:11], -v[24:25], v[26:27], v[10:11]
	v_add_u32_e32 v24, 0x400, v31
	s_nop 0
	v_div_fmas_f64 v[10:11], v[10:11], v[28:29], v[26:27]
	ds_read2_b64 v[24:27], v24 offset0:12 offset1:144
	v_div_fixup_f64 v[10:11], v[10:11], v[18:19], v[12:13]
	s_waitcnt lgkmcnt(1)
	v_fma_f64 v[6:7], -v[4:5], v[20:21], v[6:7]
	v_fma_f64 v[6:7], -v[10:11], v[16:17], v[6:7]
	;; [unrolled: 1-line block ×3, first 2 shown]
	v_mul_f64 v[4:5], v[4:5], -v[8:9]
	s_waitcnt lgkmcnt(0)
	v_mul_f64 v[8:9], v[10:11], -v[24:25]
	v_fma_f64 v[12:13], -v[10:11], v[26:27], v[12:13]
	; wave barrier
	ds_write2_b64 v1, v[4:5], v[6:7] offset1:66
	ds_write2_b64 v44, v[8:9], v[12:13] offset0:4 offset1:136
	v_sub_u32_e64 v8, v0, 16 clamp
	v_lshlrev_b32_e32 v30, 3, v8
	s_waitcnt lgkmcnt(0)
	; wave barrier
	ds_read2_b64 v[4:7], v1 offset1:66
	ds_read2_b64 v[8:11], v30 offset1:66
	v_min_u32_e32 v16, 47, v0
	v_lshlrev_b32_e32 v31, 3, v16
	ds_read2_b64 v[16:19], v31 offset0:16 offset1:82
	s_waitcnt lgkmcnt(1)
	v_div_scale_f64 v[20:21], s[0:1], v[10:11], v[10:11], v[4:5]
	v_rcp_f64_e32 v[22:23], v[20:21]
	v_div_scale_f64 v[24:25], vcc, v[4:5], v[10:11], v[4:5]
	v_fma_f64 v[12:13], -v[20:21], v[22:23], 1.0
	v_fmac_f64_e32 v[22:23], v[22:23], v[12:13]
	v_fma_f64 v[12:13], -v[20:21], v[22:23], 1.0
	v_fmac_f64_e32 v[22:23], v[22:23], v[12:13]
	ds_read2_b64 v[12:15], v44 offset0:4 offset1:136
	v_mul_f64 v[26:27], v[24:25], v[22:23]
	v_fma_f64 v[20:21], -v[20:21], v[26:27], v[24:25]
	v_div_fmas_f64 v[20:21], v[20:21], v[22:23], v[26:27]
	v_div_fixup_f64 v[4:5], v[20:21], v[10:11], v[4:5]
	s_waitcnt lgkmcnt(0)
	v_div_scale_f64 v[24:25], s[0:1], v[18:19], v[18:19], v[12:13]
	v_rcp_f64_e32 v[28:29], v[24:25]
	v_add_u32_e32 v20, 0x400, v30
	ds_read2_b64 v[20:23], v20 offset0:4 offset1:136
	v_fma_f64 v[10:11], -v[24:25], v[28:29], 1.0
	v_fmac_f64_e32 v[28:29], v[28:29], v[10:11]
	v_fma_f64 v[10:11], -v[24:25], v[28:29], 1.0
	v_fmac_f64_e32 v[28:29], v[28:29], v[10:11]
	v_div_scale_f64 v[10:11], vcc, v[12:13], v[18:19], v[12:13]
	v_mul_f64 v[26:27], v[10:11], v[28:29]
	v_fma_f64 v[10:11], -v[24:25], v[26:27], v[10:11]
	v_add_u32_e32 v24, 0x400, v31
	s_nop 0
	v_div_fmas_f64 v[10:11], v[10:11], v[28:29], v[26:27]
	ds_read2_b64 v[24:27], v24 offset0:20 offset1:152
	v_div_fixup_f64 v[10:11], v[10:11], v[18:19], v[12:13]
	s_waitcnt lgkmcnt(1)
	v_fma_f64 v[6:7], -v[4:5], v[20:21], v[6:7]
	v_fma_f64 v[6:7], -v[10:11], v[16:17], v[6:7]
	;; [unrolled: 1-line block ×3, first 2 shown]
	v_mul_f64 v[4:5], v[4:5], -v[8:9]
	v_cmp_gt_u32_e32 vcc, 32, v0
	s_waitcnt lgkmcnt(0)
	v_fma_f64 v[12:13], -v[10:11], v[26:27], v[12:13]
	v_mul_f64 v[8:9], v[10:11], -v[24:25]
	; wave barrier
	ds_write2_b64 v1, v[4:5], v[6:7] offset1:66
	ds_write2_b64 v44, v[8:9], v[12:13] offset0:4 offset1:136
	s_waitcnt lgkmcnt(0)
	; wave barrier
	s_and_saveexec_b64 s[0:1], vcc
	s_cbranch_execz .LBB26_2
; %bb.1:
	v_add_u32_e32 v4, 0x420, v1
	v_add_u32_e32 v0, 0x210, v1
	ds_read_b64 v[12:13], v4
	ds_read_b64 v[14:15], v1 offset:256
	ds_read2_b64 v[4:7], v0 offset1:32
	v_add_u32_e32 v0, 0x840, v1
	s_waitcnt lgkmcnt(1)
	v_mul_f64 v[8:9], v[12:13], v[14:15]
	s_waitcnt lgkmcnt(0)
	v_fma_f64 v[16:17], v[6:7], v[4:5], -v[8:9]
	v_div_scale_f64 v[18:19], s[2:3], v[16:17], v[16:17], 1.0
	v_rcp_f64_e32 v[20:21], v[18:19]
	v_div_scale_f64 v[22:23], vcc, 1.0, v[16:17], 1.0
	v_fma_f64 v[8:9], -v[18:19], v[20:21], 1.0
	v_fmac_f64_e32 v[20:21], v[20:21], v[8:9]
	v_fma_f64 v[8:9], -v[18:19], v[20:21], 1.0
	v_fmac_f64_e32 v[20:21], v[20:21], v[8:9]
	ds_read2_b64 v[8:11], v0 offset1:32
	v_mul_f64 v[24:25], v[22:23], v[20:21]
	v_fma_f64 v[18:19], -v[18:19], v[24:25], v[22:23]
	v_div_fmas_f64 v[18:19], v[18:19], v[20:21], v[24:25]
	v_div_fixup_f64 v[16:17], v[18:19], v[16:17], 1.0
	s_waitcnt lgkmcnt(0)
	v_mul_f64 v[12:13], v[12:13], v[10:11]
	v_fma_f64 v[6:7], v[6:7], v[8:9], -v[12:13]
	v_mul_f64 v[8:9], v[14:15], v[8:9]
	v_fma_f64 v[4:5], v[4:5], v[10:11], -v[8:9]
	v_mul_f64 v[6:7], v[16:17], v[6:7]
	v_mul_f64 v[4:5], v[16:17], v[4:5]
	ds_write2_b64 v1, v[6:7], v[4:5] offset0:198 offset1:230
.LBB26_2:
	s_or_b64 exec, exec, s[0:1]
	s_waitcnt lgkmcnt(0)
	; wave barrier
	ds_read_b64 v[0:1], v1 offset:1584
	s_waitcnt lgkmcnt(0)
	global_store_dwordx2 v[2:3], v[0:1], off
	s_endpgm
	.section	.rodata,"a",@progbits
	.p2align	6, 0x0
	.amdhsa_kernel _ZN9rocsparseL49gtsv_nopivot_strided_batch_pcr_pow2_shared_kernelILj64EdEEviiiPKT0_S3_S3_PS1_
		.amdhsa_group_segment_fixed_size 2632
		.amdhsa_private_segment_fixed_size 0
		.amdhsa_kernarg_size 48
		.amdhsa_user_sgpr_count 2
		.amdhsa_user_sgpr_dispatch_ptr 0
		.amdhsa_user_sgpr_queue_ptr 0
		.amdhsa_user_sgpr_kernarg_segment_ptr 1
		.amdhsa_user_sgpr_dispatch_id 0
		.amdhsa_user_sgpr_kernarg_preload_length 0
		.amdhsa_user_sgpr_kernarg_preload_offset 0
		.amdhsa_user_sgpr_private_segment_size 0
		.amdhsa_uses_dynamic_stack 0
		.amdhsa_enable_private_segment 0
		.amdhsa_system_sgpr_workgroup_id_x 1
		.amdhsa_system_sgpr_workgroup_id_y 0
		.amdhsa_system_sgpr_workgroup_id_z 0
		.amdhsa_system_sgpr_workgroup_info 0
		.amdhsa_system_vgpr_workitem_id 0
		.amdhsa_next_free_vgpr 50
		.amdhsa_next_free_sgpr 12
		.amdhsa_accum_offset 52
		.amdhsa_reserve_vcc 1
		.amdhsa_float_round_mode_32 0
		.amdhsa_float_round_mode_16_64 0
		.amdhsa_float_denorm_mode_32 3
		.amdhsa_float_denorm_mode_16_64 3
		.amdhsa_dx10_clamp 1
		.amdhsa_ieee_mode 1
		.amdhsa_fp16_overflow 0
		.amdhsa_tg_split 0
		.amdhsa_exception_fp_ieee_invalid_op 0
		.amdhsa_exception_fp_denorm_src 0
		.amdhsa_exception_fp_ieee_div_zero 0
		.amdhsa_exception_fp_ieee_overflow 0
		.amdhsa_exception_fp_ieee_underflow 0
		.amdhsa_exception_fp_ieee_inexact 0
		.amdhsa_exception_int_div_zero 0
	.end_amdhsa_kernel
	.section	.text._ZN9rocsparseL49gtsv_nopivot_strided_batch_pcr_pow2_shared_kernelILj64EdEEviiiPKT0_S3_S3_PS1_,"axG",@progbits,_ZN9rocsparseL49gtsv_nopivot_strided_batch_pcr_pow2_shared_kernelILj64EdEEviiiPKT0_S3_S3_PS1_,comdat
.Lfunc_end26:
	.size	_ZN9rocsparseL49gtsv_nopivot_strided_batch_pcr_pow2_shared_kernelILj64EdEEviiiPKT0_S3_S3_PS1_, .Lfunc_end26-_ZN9rocsparseL49gtsv_nopivot_strided_batch_pcr_pow2_shared_kernelILj64EdEEviiiPKT0_S3_S3_PS1_
                                        ; -- End function
	.set _ZN9rocsparseL49gtsv_nopivot_strided_batch_pcr_pow2_shared_kernelILj64EdEEviiiPKT0_S3_S3_PS1_.num_vgpr, 50
	.set _ZN9rocsparseL49gtsv_nopivot_strided_batch_pcr_pow2_shared_kernelILj64EdEEviiiPKT0_S3_S3_PS1_.num_agpr, 0
	.set _ZN9rocsparseL49gtsv_nopivot_strided_batch_pcr_pow2_shared_kernelILj64EdEEviiiPKT0_S3_S3_PS1_.numbered_sgpr, 12
	.set _ZN9rocsparseL49gtsv_nopivot_strided_batch_pcr_pow2_shared_kernelILj64EdEEviiiPKT0_S3_S3_PS1_.num_named_barrier, 0
	.set _ZN9rocsparseL49gtsv_nopivot_strided_batch_pcr_pow2_shared_kernelILj64EdEEviiiPKT0_S3_S3_PS1_.private_seg_size, 0
	.set _ZN9rocsparseL49gtsv_nopivot_strided_batch_pcr_pow2_shared_kernelILj64EdEEviiiPKT0_S3_S3_PS1_.uses_vcc, 1
	.set _ZN9rocsparseL49gtsv_nopivot_strided_batch_pcr_pow2_shared_kernelILj64EdEEviiiPKT0_S3_S3_PS1_.uses_flat_scratch, 0
	.set _ZN9rocsparseL49gtsv_nopivot_strided_batch_pcr_pow2_shared_kernelILj64EdEEviiiPKT0_S3_S3_PS1_.has_dyn_sized_stack, 0
	.set _ZN9rocsparseL49gtsv_nopivot_strided_batch_pcr_pow2_shared_kernelILj64EdEEviiiPKT0_S3_S3_PS1_.has_recursion, 0
	.set _ZN9rocsparseL49gtsv_nopivot_strided_batch_pcr_pow2_shared_kernelILj64EdEEviiiPKT0_S3_S3_PS1_.has_indirect_call, 0
	.section	.AMDGPU.csdata,"",@progbits
; Kernel info:
; codeLenInByte = 2020
; TotalNumSgprs: 18
; NumVgprs: 50
; NumAgprs: 0
; TotalNumVgprs: 50
; ScratchSize: 0
; MemoryBound: 1
; FloatMode: 240
; IeeeMode: 1
; LDSByteSize: 2632 bytes/workgroup (compile time only)
; SGPRBlocks: 2
; VGPRBlocks: 6
; NumSGPRsForWavesPerEU: 18
; NumVGPRsForWavesPerEU: 50
; AccumOffset: 52
; Occupancy: 8
; WaveLimiterHint : 1
; COMPUTE_PGM_RSRC2:SCRATCH_EN: 0
; COMPUTE_PGM_RSRC2:USER_SGPR: 2
; COMPUTE_PGM_RSRC2:TRAP_HANDLER: 0
; COMPUTE_PGM_RSRC2:TGID_X_EN: 1
; COMPUTE_PGM_RSRC2:TGID_Y_EN: 0
; COMPUTE_PGM_RSRC2:TGID_Z_EN: 0
; COMPUTE_PGM_RSRC2:TIDIG_COMP_CNT: 0
; COMPUTE_PGM_RSRC3_GFX90A:ACCUM_OFFSET: 12
; COMPUTE_PGM_RSRC3_GFX90A:TG_SPLIT: 0
	.section	.text._ZN9rocsparseL51gtsv_nopivot_strided_batch_crpcr_pow2_shared_kernelILj64ELj64EdEEviiiPKT1_S3_S3_PS1_,"axG",@progbits,_ZN9rocsparseL51gtsv_nopivot_strided_batch_crpcr_pow2_shared_kernelILj64ELj64EdEEviiiPKT1_S3_S3_PS1_,comdat
	.globl	_ZN9rocsparseL51gtsv_nopivot_strided_batch_crpcr_pow2_shared_kernelILj64ELj64EdEEviiiPKT1_S3_S3_PS1_ ; -- Begin function _ZN9rocsparseL51gtsv_nopivot_strided_batch_crpcr_pow2_shared_kernelILj64ELj64EdEEviiiPKT1_S3_S3_PS1_
	.p2align	8
	.type	_ZN9rocsparseL51gtsv_nopivot_strided_batch_crpcr_pow2_shared_kernelILj64ELj64EdEEviiiPKT1_S3_S3_PS1_,@function
_ZN9rocsparseL51gtsv_nopivot_strided_batch_crpcr_pow2_shared_kernelILj64ELj64EdEEviiiPKT1_S3_S3_PS1_: ; @_ZN9rocsparseL51gtsv_nopivot_strided_batch_crpcr_pow2_shared_kernelILj64ELj64EdEEviiiPKT1_S3_S3_PS1_
; %bb.0:
	s_load_dword s3, s[0:1], 0x8
	s_load_dwordx8 s[4:11], s[0:1], 0x10
	v_mov_b32_e32 v5, 0
	v_lshlrev_b32_e32 v1, 3, v0
	v_cmp_gt_u32_e64 s[0:1], 64, v0
	s_waitcnt lgkmcnt(0)
	s_mul_i32 s3, s3, s2
	v_add_u32_e32 v2, s3, v0
	v_ashrrev_i32_e32 v3, 31, v2
	v_add_u32_e32 v4, 64, v2
	v_lshlrev_b64 v[2:3], 3, v[2:3]
	v_lshlrev_b64 v[4:5], 3, v[4:5]
	v_lshl_add_u64 v[6:7], s[4:5], 0, v[2:3]
	v_lshl_add_u64 v[8:9], s[4:5], 0, v[4:5]
	global_load_dwordx2 v[10:11], v[6:7], off
	global_load_dwordx2 v[12:13], v[8:9], off
	v_lshl_add_u64 v[6:7], s[6:7], 0, v[2:3]
	v_lshl_add_u64 v[8:9], s[6:7], 0, v[4:5]
	global_load_dwordx2 v[14:15], v[6:7], off
	global_load_dwordx2 v[16:17], v[8:9], off
	v_lshl_add_u64 v[6:7], s[8:9], 0, v[2:3]
	v_lshl_add_u64 v[8:9], s[8:9], 0, v[4:5]
	v_lshl_add_u64 v[2:3], s[10:11], 0, v[2:3]
	global_load_dwordx2 v[18:19], v[6:7], off
	global_load_dwordx2 v[20:21], v[8:9], off
	v_lshl_add_u64 v[4:5], s[10:11], 0, v[4:5]
	global_load_dwordx2 v[6:7], v[2:3], off
	global_load_dwordx2 v[8:9], v[4:5], off
	v_cmp_lt_u32_e32 vcc, 63, v0
	s_waitcnt vmcnt(6)
	ds_write2st64_b64 v1, v[10:11], v[12:13] offset1:1
	s_waitcnt vmcnt(4)
	ds_write2st64_b64 v1, v[14:15], v[16:17] offset0:2 offset1:3
	s_waitcnt vmcnt(2)
	ds_write2st64_b64 v1, v[18:19], v[20:21] offset0:4 offset1:5
	;; [unrolled: 2-line block ×3, first 2 shown]
	s_waitcnt lgkmcnt(0)
	; wave barrier
	s_and_saveexec_b64 s[2:3], vcc
	s_xor_b64 s[2:3], exec, s[2:3]
	s_or_saveexec_b64 s[2:3], s[2:3]
	v_or_b32_e32 v9, 0x400, v1
	v_or_b32_e32 v8, 0x800, v1
	;; [unrolled: 1-line block ×3, first 2 shown]
	v_lshlrev_b32_e32 v6, 1, v0
	s_xor_b64 exec, exec, s[2:3]
	s_cbranch_execz .LBB27_2
; %bb.1:
	v_add_u32_e32 v40, v1, v1
	v_add_u32_e32 v41, v9, v1
	ds_read_b128 v[10:13], v40
	ds_read_b128 v[14:17], v41
	v_min_u32_e32 v22, 0x7d, v6
	v_add_u32_e32 v42, v8, v1
	v_lshlrev_b32_e32 v43, 3, v22
	ds_read2_b64 v[22:25], v43 offset0:2 offset1:130
	s_waitcnt lgkmcnt(1)
	v_div_scale_f64 v[26:27], s[4:5], v[14:15], v[14:15], v[12:13]
	v_rcp_f64_e32 v[30:31], v[26:27]
	v_div_scale_f64 v[28:29], vcc, v[12:13], v[14:15], v[12:13]
	v_add_u32_e32 v44, v7, v1
	v_fma_f64 v[18:19], -v[26:27], v[30:31], 1.0
	v_fmac_f64_e32 v[30:31], v[30:31], v[18:19]
	v_fma_f64 v[18:19], -v[26:27], v[30:31], 1.0
	v_fmac_f64_e32 v[30:31], v[30:31], v[18:19]
	ds_read_b128 v[18:21], v42
	v_mul_f64 v[32:33], v[28:29], v[30:31]
	v_fma_f64 v[34:35], -v[26:27], v[32:33], v[28:29]
	ds_read_b128 v[26:29], v44
	v_div_fmas_f64 v[30:31], v[34:35], v[30:31], v[32:33]
	s_waitcnt lgkmcnt(1)
	v_div_scale_f64 v[36:37], s[4:5], v[24:25], v[24:25], v[20:21]
	v_rcp_f64_e32 v[38:39], v[36:37]
	v_div_fixup_f64 v[30:31], v[30:31], v[14:15], v[12:13]
	v_fma_f64 v[16:17], -v[30:31], v[18:19], v[16:17]
	v_mul_f64 v[10:11], v[30:31], -v[10:11]
	v_fma_f64 v[12:13], -v[36:37], v[38:39], 1.0
	v_fmac_f64_e32 v[38:39], v[38:39], v[12:13]
	v_fma_f64 v[12:13], -v[36:37], v[38:39], 1.0
	v_fmac_f64_e32 v[38:39], v[38:39], v[12:13]
	v_div_scale_f64 v[12:13], vcc, v[20:21], v[24:25], v[20:21]
	v_mul_f64 v[14:15], v[12:13], v[38:39]
	v_fma_f64 v[12:13], -v[36:37], v[14:15], v[12:13]
	ds_write_b64 v40, v[10:11] offset:8
	s_nop 0
	v_div_fmas_f64 v[12:13], v[12:13], v[38:39], v[14:15]
	v_div_fixup_f64 v[20:21], v[12:13], v[24:25], v[20:21]
	v_add_u32_e32 v12, 16, v43
	ds_read2st64_b64 v[12:15], v12 offset0:4 offset1:8
	v_fma_f64 v[16:17], -v[20:21], v[22:23], v[16:17]
	ds_write_b64 v41, v[16:17] offset:8
	s_waitcnt lgkmcnt(3)
	v_fma_f64 v[16:17], -v[30:31], v[26:27], v[28:29]
	s_waitcnt lgkmcnt(1)
	v_fma_f64 v[14:15], -v[20:21], v[14:15], v[16:17]
	v_mul_f64 v[10:11], v[20:21], -v[12:13]
	ds_write_b64 v44, v[14:15] offset:8
	ds_write_b64 v42, v[10:11] offset:8
.LBB27_2:
	s_or_b64 exec, exec, s[2:3]
	v_add_u32_e32 v10, v1, v1
	v_add_u32_e32 v11, v9, v1
	;; [unrolled: 1-line block ×3, first 2 shown]
	s_waitcnt lgkmcnt(0)
	; wave barrier
	v_add_u32_e32 v7, v7, v1
	ds_read_b64 v[8:9], v10 offset:8
	ds_read_b64 v[10:11], v11 offset:8
	;; [unrolled: 1-line block ×4, first 2 shown]
	v_sub_u32_e64 v7, v0, 1 clamp
	v_lshlrev_b32_e32 v7, 3, v7
	s_waitcnt lgkmcnt(2)
	ds_write2st64_b64 v1, v[8:9], v[10:11] offset0:10 offset1:11
	s_waitcnt lgkmcnt(1)
	ds_write2st64_b64 v1, v[12:13], v[14:15] offset0:12 offset1:14
	s_waitcnt lgkmcnt(0)
	; wave barrier
	ds_read2st64_b64 v[8:11], v1 offset0:10 offset1:11
	ds_read2st64_b64 v[12:15], v7 offset0:10 offset1:11
	v_min_u32_e32 v20, 62, v0
	v_lshlrev_b32_e32 v20, 3, v20
	v_add_u32_e32 v34, 8, v20
	ds_read2st64_b64 v[20:23], v34 offset0:10 offset1:11
	s_waitcnt lgkmcnt(1)
	v_div_scale_f64 v[24:25], s[2:3], v[14:15], v[14:15], v[8:9]
	v_rcp_f64_e32 v[26:27], v[24:25]
	v_div_scale_f64 v[28:29], vcc, v[8:9], v[14:15], v[8:9]
	v_fma_f64 v[16:17], -v[24:25], v[26:27], 1.0
	v_fmac_f64_e32 v[26:27], v[26:27], v[16:17]
	v_fma_f64 v[16:17], -v[24:25], v[26:27], 1.0
	v_fmac_f64_e32 v[26:27], v[26:27], v[16:17]
	ds_read2st64_b64 v[16:19], v1 offset0:12 offset1:14
	v_mul_f64 v[30:31], v[28:29], v[26:27]
	v_fma_f64 v[24:25], -v[24:25], v[30:31], v[28:29]
	v_div_fmas_f64 v[24:25], v[24:25], v[26:27], v[30:31]
	v_div_fixup_f64 v[8:9], v[24:25], v[14:15], v[8:9]
	s_waitcnt lgkmcnt(0)
	v_div_scale_f64 v[28:29], s[2:3], v[22:23], v[22:23], v[16:17]
	v_rcp_f64_e32 v[32:33], v[28:29]
	ds_read2st64_b64 v[24:27], v7 offset0:12 offset1:14
	v_sub_u32_e64 v7, v0, 2 clamp
	v_lshlrev_b32_e32 v7, 3, v7
	v_fma_f64 v[14:15], -v[28:29], v[32:33], 1.0
	v_fmac_f64_e32 v[32:33], v[32:33], v[14:15]
	v_fma_f64 v[14:15], -v[28:29], v[32:33], 1.0
	v_fmac_f64_e32 v[32:33], v[32:33], v[14:15]
	v_div_scale_f64 v[14:15], vcc, v[16:17], v[22:23], v[16:17]
	v_mul_f64 v[30:31], v[14:15], v[32:33]
	v_fma_f64 v[14:15], -v[28:29], v[30:31], v[14:15]
	s_waitcnt lgkmcnt(0)
	v_fma_f64 v[10:11], -v[8:9], v[24:25], v[10:11]
	v_div_fmas_f64 v[14:15], v[14:15], v[32:33], v[30:31]
	ds_read2st64_b64 v[28:31], v34 offset0:12 offset1:14
	v_div_fixup_f64 v[14:15], v[14:15], v[22:23], v[16:17]
	v_fma_f64 v[10:11], -v[14:15], v[20:21], v[10:11]
	v_fma_f64 v[16:17], -v[8:9], v[26:27], v[18:19]
	v_mul_f64 v[8:9], v[8:9], -v[12:13]
	s_waitcnt lgkmcnt(0)
	v_mul_f64 v[12:13], v[14:15], -v[28:29]
	v_fma_f64 v[16:17], -v[14:15], v[30:31], v[16:17]
	; wave barrier
	ds_write2st64_b64 v1, v[8:9], v[10:11] offset0:10 offset1:11
	ds_write2st64_b64 v1, v[12:13], v[16:17] offset0:12 offset1:14
	s_waitcnt lgkmcnt(0)
	; wave barrier
	ds_read2st64_b64 v[8:11], v1 offset0:10 offset1:11
	ds_read2st64_b64 v[12:15], v7 offset0:10 offset1:11
	v_min_u32_e32 v20, 61, v0
	v_lshlrev_b32_e32 v20, 3, v20
	v_add_u32_e32 v34, 16, v20
	ds_read2st64_b64 v[20:23], v34 offset0:10 offset1:11
	s_waitcnt lgkmcnt(1)
	v_div_scale_f64 v[24:25], s[2:3], v[14:15], v[14:15], v[8:9]
	v_rcp_f64_e32 v[26:27], v[24:25]
	v_div_scale_f64 v[28:29], vcc, v[8:9], v[14:15], v[8:9]
	v_fma_f64 v[16:17], -v[24:25], v[26:27], 1.0
	v_fmac_f64_e32 v[26:27], v[26:27], v[16:17]
	v_fma_f64 v[16:17], -v[24:25], v[26:27], 1.0
	v_fmac_f64_e32 v[26:27], v[26:27], v[16:17]
	ds_read2st64_b64 v[16:19], v1 offset0:12 offset1:14
	v_mul_f64 v[30:31], v[28:29], v[26:27]
	v_fma_f64 v[24:25], -v[24:25], v[30:31], v[28:29]
	v_div_fmas_f64 v[24:25], v[24:25], v[26:27], v[30:31]
	v_div_fixup_f64 v[8:9], v[24:25], v[14:15], v[8:9]
	s_waitcnt lgkmcnt(0)
	v_div_scale_f64 v[28:29], s[2:3], v[22:23], v[22:23], v[16:17]
	v_rcp_f64_e32 v[32:33], v[28:29]
	ds_read2st64_b64 v[24:27], v7 offset0:12 offset1:14
	v_sub_u32_e64 v7, v0, 4 clamp
	v_lshlrev_b32_e32 v7, 3, v7
	v_fma_f64 v[14:15], -v[28:29], v[32:33], 1.0
	v_fmac_f64_e32 v[32:33], v[32:33], v[14:15]
	v_fma_f64 v[14:15], -v[28:29], v[32:33], 1.0
	v_fmac_f64_e32 v[32:33], v[32:33], v[14:15]
	v_div_scale_f64 v[14:15], vcc, v[16:17], v[22:23], v[16:17]
	v_mul_f64 v[30:31], v[14:15], v[32:33]
	v_fma_f64 v[14:15], -v[28:29], v[30:31], v[14:15]
	s_waitcnt lgkmcnt(0)
	v_fma_f64 v[10:11], -v[8:9], v[24:25], v[10:11]
	v_div_fmas_f64 v[14:15], v[14:15], v[32:33], v[30:31]
	ds_read2st64_b64 v[28:31], v34 offset0:12 offset1:14
	v_div_fixup_f64 v[14:15], v[14:15], v[22:23], v[16:17]
	v_fma_f64 v[10:11], -v[14:15], v[20:21], v[10:11]
	v_fma_f64 v[16:17], -v[8:9], v[26:27], v[18:19]
	v_mul_f64 v[8:9], v[8:9], -v[12:13]
	s_waitcnt lgkmcnt(0)
	v_mul_f64 v[12:13], v[14:15], -v[28:29]
	v_fma_f64 v[16:17], -v[14:15], v[30:31], v[16:17]
	; wave barrier
	ds_write2st64_b64 v1, v[8:9], v[10:11] offset0:10 offset1:11
	;; [unrolled: 48-line block ×4, first 2 shown]
	ds_write2st64_b64 v1, v[12:13], v[16:17] offset0:12 offset1:14
	s_waitcnt lgkmcnt(0)
	; wave barrier
	ds_read2st64_b64 v[8:11], v1 offset0:10 offset1:11
	ds_read2st64_b64 v[12:15], v7 offset0:10 offset1:11
	v_min_u32_e32 v20, 47, v0
	v_lshlrev_b32_e32 v20, 3, v20
	v_add_u32_e32 v34, 0x80, v20
	ds_read2st64_b64 v[20:23], v34 offset0:10 offset1:11
	s_waitcnt lgkmcnt(1)
	v_div_scale_f64 v[24:25], s[2:3], v[14:15], v[14:15], v[8:9]
	v_rcp_f64_e32 v[26:27], v[24:25]
	v_div_scale_f64 v[28:29], vcc, v[8:9], v[14:15], v[8:9]
	v_fma_f64 v[16:17], -v[24:25], v[26:27], 1.0
	v_fmac_f64_e32 v[26:27], v[26:27], v[16:17]
	v_fma_f64 v[16:17], -v[24:25], v[26:27], 1.0
	v_fmac_f64_e32 v[26:27], v[26:27], v[16:17]
	ds_read2st64_b64 v[16:19], v1 offset0:12 offset1:14
	v_mul_f64 v[30:31], v[28:29], v[26:27]
	v_fma_f64 v[24:25], -v[24:25], v[30:31], v[28:29]
	v_div_fmas_f64 v[24:25], v[24:25], v[26:27], v[30:31]
	v_div_fixup_f64 v[8:9], v[24:25], v[14:15], v[8:9]
	s_waitcnt lgkmcnt(0)
	v_div_scale_f64 v[28:29], s[2:3], v[22:23], v[22:23], v[16:17]
	v_rcp_f64_e32 v[32:33], v[28:29]
	ds_read2st64_b64 v[24:27], v7 offset0:12 offset1:14
	v_fma_f64 v[14:15], -v[28:29], v[32:33], 1.0
	v_fmac_f64_e32 v[32:33], v[32:33], v[14:15]
	v_fma_f64 v[14:15], -v[28:29], v[32:33], 1.0
	v_fmac_f64_e32 v[32:33], v[32:33], v[14:15]
	v_div_scale_f64 v[14:15], vcc, v[16:17], v[22:23], v[16:17]
	v_mul_f64 v[30:31], v[14:15], v[32:33]
	v_fma_f64 v[14:15], -v[28:29], v[30:31], v[14:15]
	s_waitcnt lgkmcnt(0)
	v_fma_f64 v[10:11], -v[8:9], v[24:25], v[10:11]
	v_div_fmas_f64 v[14:15], v[14:15], v[32:33], v[30:31]
	ds_read2st64_b64 v[28:31], v34 offset0:12 offset1:14
	v_div_fixup_f64 v[14:15], v[14:15], v[22:23], v[16:17]
	v_fma_f64 v[10:11], -v[14:15], v[20:21], v[10:11]
	v_fma_f64 v[16:17], -v[8:9], v[26:27], v[18:19]
	v_mul_f64 v[8:9], v[8:9], -v[12:13]
	v_cmp_gt_u32_e32 vcc, 32, v0
	s_waitcnt lgkmcnt(0)
	v_fma_f64 v[16:17], -v[14:15], v[30:31], v[16:17]
	v_mul_f64 v[12:13], v[14:15], -v[28:29]
	; wave barrier
	ds_write2st64_b64 v1, v[8:9], v[10:11] offset0:10 offset1:11
	ds_write2st64_b64 v1, v[12:13], v[16:17] offset0:12 offset1:14
	s_waitcnt lgkmcnt(0)
	; wave barrier
	s_and_saveexec_b64 s[2:3], vcc
	s_cbranch_execz .LBB27_4
; %bb.3:
	v_or_b32_e32 v8, 0x1600, v1
	v_or_b32_e32 v9, 0x1800, v1
	v_or_b32_e32 v7, 0x1400, v1
	ds_read_b64 v[16:17], v9
	ds_read_b64 v[18:19], v7 offset:256
	ds_read2_b64 v[8:11], v8 offset1:32
	v_or_b32_e32 v7, 0x1c00, v1
	s_waitcnt lgkmcnt(1)
	v_mul_f64 v[12:13], v[16:17], v[18:19]
	s_waitcnt lgkmcnt(0)
	v_fma_f64 v[20:21], v[10:11], v[8:9], -v[12:13]
	v_div_scale_f64 v[22:23], s[4:5], v[20:21], v[20:21], 1.0
	v_rcp_f64_e32 v[24:25], v[22:23]
	v_div_scale_f64 v[26:27], vcc, 1.0, v[20:21], 1.0
	v_fma_f64 v[12:13], -v[22:23], v[24:25], 1.0
	v_fmac_f64_e32 v[24:25], v[24:25], v[12:13]
	v_fma_f64 v[12:13], -v[22:23], v[24:25], 1.0
	v_fmac_f64_e32 v[24:25], v[24:25], v[12:13]
	ds_read2_b64 v[12:15], v7 offset1:32
	v_mul_f64 v[28:29], v[26:27], v[24:25]
	v_fma_f64 v[22:23], -v[22:23], v[28:29], v[26:27]
	v_div_fmas_f64 v[22:23], v[22:23], v[24:25], v[28:29]
	v_div_fixup_f64 v[20:21], v[22:23], v[20:21], 1.0
	s_waitcnt lgkmcnt(0)
	v_mul_f64 v[16:17], v[16:17], v[14:15]
	v_fma_f64 v[10:11], v[10:11], v[12:13], -v[16:17]
	v_mul_f64 v[12:13], v[18:19], v[12:13]
	v_fma_f64 v[8:9], v[8:9], v[14:15], -v[12:13]
	v_mul_f64 v[10:11], v[20:21], v[10:11]
	v_mul_f64 v[8:9], v[20:21], v[8:9]
	v_add_u32_e32 v7, 0x1800, v1
	ds_write2_b64 v7, v[10:11], v[8:9] offset0:64 offset1:96
.LBB27_4:
	s_or_b64 exec, exec, s[2:3]
	s_waitcnt lgkmcnt(0)
	; wave barrier
	ds_read_b64 v[10:11], v1 offset:6656
	v_lshlrev_b32_e32 v7, 4, v0
	v_or_b32_e32 v8, 0xc00, v7
	s_waitcnt lgkmcnt(0)
	ds_write_b64 v7, v[10:11] offset:3080
	s_waitcnt lgkmcnt(0)
	; wave barrier
	s_and_saveexec_b64 s[2:3], s[0:1]
	s_cbranch_execz .LBB27_9
; %bb.5:
	v_lshlrev_b32_e32 v9, 3, v6
	ds_read_b64 v[6:7], v9 offset:4096
	v_cmp_ne_u32_e32 vcc, 0, v0
	s_and_saveexec_b64 s[0:1], vcc
	s_xor_b64 s[0:1], exec, s[0:1]
	s_cbranch_execz .LBB27_7
; %bb.6:
	ds_read2st64_b64 v[10:13], v9 offset1:2
	v_add_u32_e32 v0, -8, v8
	ds_read_b64 v[14:15], v0
	ds_read_b64 v[16:17], v9 offset:2048
	ds_read_b64 v[18:19], v8 offset:8
                                        ; implicit-def: $vgpr9
	s_waitcnt lgkmcnt(2)
	v_fma_f64 v[6:7], -v[10:11], v[14:15], v[6:7]
	s_waitcnt lgkmcnt(0)
	v_fma_f64 v[6:7], -v[16:17], v[18:19], v[6:7]
	v_div_scale_f64 v[10:11], s[4:5], v[12:13], v[12:13], v[6:7]
	v_rcp_f64_e32 v[14:15], v[10:11]
	v_div_scale_f64 v[16:17], vcc, v[6:7], v[12:13], v[6:7]
	v_fma_f64 v[18:19], -v[10:11], v[14:15], 1.0
	v_fmac_f64_e32 v[14:15], v[14:15], v[18:19]
	v_fma_f64 v[18:19], -v[10:11], v[14:15], 1.0
	v_fmac_f64_e32 v[14:15], v[14:15], v[18:19]
	v_mul_f64 v[18:19], v[16:17], v[14:15]
	v_fma_f64 v[10:11], -v[10:11], v[18:19], v[16:17]
	v_div_fmas_f64 v[10:11], v[10:11], v[14:15], v[18:19]
	v_div_fixup_f64 v[6:7], v[10:11], v[12:13], v[6:7]
	ds_write_b64 v8, v[6:7]
                                        ; implicit-def: $vgpr6_vgpr7
.LBB27_7:
	s_andn2_saveexec_b64 s[0:1], s[0:1]
	s_cbranch_execz .LBB27_9
; %bb.8:
	ds_read2st64_b64 v[10:13], v9 offset0:2 offset1:4
	ds_read_b64 v[14:15], v8 offset:8
	s_waitcnt lgkmcnt(0)
	v_fma_f64 v[6:7], -v[12:13], v[14:15], v[6:7]
	v_div_scale_f64 v[12:13], s[0:1], v[10:11], v[10:11], v[6:7]
	v_rcp_f64_e32 v[14:15], v[12:13]
	v_div_scale_f64 v[16:17], vcc, v[6:7], v[10:11], v[6:7]
	v_fma_f64 v[18:19], -v[12:13], v[14:15], 1.0
	v_fmac_f64_e32 v[14:15], v[14:15], v[18:19]
	v_fma_f64 v[18:19], -v[12:13], v[14:15], 1.0
	v_fmac_f64_e32 v[14:15], v[14:15], v[18:19]
	v_mul_f64 v[18:19], v[16:17], v[14:15]
	v_fma_f64 v[12:13], -v[12:13], v[18:19], v[16:17]
	v_div_fmas_f64 v[12:13], v[12:13], v[14:15], v[18:19]
	v_div_fixup_f64 v[6:7], v[12:13], v[10:11], v[6:7]
	ds_write_b64 v8, v[6:7]
.LBB27_9:
	s_or_b64 exec, exec, s[2:3]
	v_sub_u32_e32 v0, v8, v1
	s_waitcnt lgkmcnt(0)
	; wave barrier
	ds_read2st64_b64 v[6:9], v0 offset1:1
	s_waitcnt lgkmcnt(0)
	global_store_dwordx2 v[2:3], v[6:7], off
	global_store_dwordx2 v[4:5], v[8:9], off
	s_endpgm
	.section	.rodata,"a",@progbits
	.p2align	6, 0x0
	.amdhsa_kernel _ZN9rocsparseL51gtsv_nopivot_strided_batch_crpcr_pow2_shared_kernelILj64ELj64EdEEviiiPKT1_S3_S3_PS1_
		.amdhsa_group_segment_fixed_size 7680
		.amdhsa_private_segment_fixed_size 0
		.amdhsa_kernarg_size 48
		.amdhsa_user_sgpr_count 2
		.amdhsa_user_sgpr_dispatch_ptr 0
		.amdhsa_user_sgpr_queue_ptr 0
		.amdhsa_user_sgpr_kernarg_segment_ptr 1
		.amdhsa_user_sgpr_dispatch_id 0
		.amdhsa_user_sgpr_kernarg_preload_length 0
		.amdhsa_user_sgpr_kernarg_preload_offset 0
		.amdhsa_user_sgpr_private_segment_size 0
		.amdhsa_uses_dynamic_stack 0
		.amdhsa_enable_private_segment 0
		.amdhsa_system_sgpr_workgroup_id_x 1
		.amdhsa_system_sgpr_workgroup_id_y 0
		.amdhsa_system_sgpr_workgroup_id_z 0
		.amdhsa_system_sgpr_workgroup_info 0
		.amdhsa_system_vgpr_workitem_id 0
		.amdhsa_next_free_vgpr 73
		.amdhsa_next_free_sgpr 91
		.amdhsa_accum_offset 48
		.amdhsa_reserve_vcc 1
		.amdhsa_float_round_mode_32 0
		.amdhsa_float_round_mode_16_64 0
		.amdhsa_float_denorm_mode_32 3
		.amdhsa_float_denorm_mode_16_64 3
		.amdhsa_dx10_clamp 1
		.amdhsa_ieee_mode 1
		.amdhsa_fp16_overflow 0
		.amdhsa_tg_split 0
		.amdhsa_exception_fp_ieee_invalid_op 0
		.amdhsa_exception_fp_denorm_src 0
		.amdhsa_exception_fp_ieee_div_zero 0
		.amdhsa_exception_fp_ieee_overflow 0
		.amdhsa_exception_fp_ieee_underflow 0
		.amdhsa_exception_fp_ieee_inexact 0
		.amdhsa_exception_int_div_zero 0
	.end_amdhsa_kernel
	.section	.text._ZN9rocsparseL51gtsv_nopivot_strided_batch_crpcr_pow2_shared_kernelILj64ELj64EdEEviiiPKT1_S3_S3_PS1_,"axG",@progbits,_ZN9rocsparseL51gtsv_nopivot_strided_batch_crpcr_pow2_shared_kernelILj64ELj64EdEEviiiPKT1_S3_S3_PS1_,comdat
.Lfunc_end27:
	.size	_ZN9rocsparseL51gtsv_nopivot_strided_batch_crpcr_pow2_shared_kernelILj64ELj64EdEEviiiPKT1_S3_S3_PS1_, .Lfunc_end27-_ZN9rocsparseL51gtsv_nopivot_strided_batch_crpcr_pow2_shared_kernelILj64ELj64EdEEviiiPKT1_S3_S3_PS1_
                                        ; -- End function
	.set _ZN9rocsparseL51gtsv_nopivot_strided_batch_crpcr_pow2_shared_kernelILj64ELj64EdEEviiiPKT1_S3_S3_PS1_.num_vgpr, 45
	.set _ZN9rocsparseL51gtsv_nopivot_strided_batch_crpcr_pow2_shared_kernelILj64ELj64EdEEviiiPKT1_S3_S3_PS1_.num_agpr, 0
	.set _ZN9rocsparseL51gtsv_nopivot_strided_batch_crpcr_pow2_shared_kernelILj64ELj64EdEEviiiPKT1_S3_S3_PS1_.numbered_sgpr, 12
	.set _ZN9rocsparseL51gtsv_nopivot_strided_batch_crpcr_pow2_shared_kernelILj64ELj64EdEEviiiPKT1_S3_S3_PS1_.num_named_barrier, 0
	.set _ZN9rocsparseL51gtsv_nopivot_strided_batch_crpcr_pow2_shared_kernelILj64ELj64EdEEviiiPKT1_S3_S3_PS1_.private_seg_size, 0
	.set _ZN9rocsparseL51gtsv_nopivot_strided_batch_crpcr_pow2_shared_kernelILj64ELj64EdEEviiiPKT1_S3_S3_PS1_.uses_vcc, 1
	.set _ZN9rocsparseL51gtsv_nopivot_strided_batch_crpcr_pow2_shared_kernelILj64ELj64EdEEviiiPKT1_S3_S3_PS1_.uses_flat_scratch, 0
	.set _ZN9rocsparseL51gtsv_nopivot_strided_batch_crpcr_pow2_shared_kernelILj64ELj64EdEEviiiPKT1_S3_S3_PS1_.has_dyn_sized_stack, 0
	.set _ZN9rocsparseL51gtsv_nopivot_strided_batch_crpcr_pow2_shared_kernelILj64ELj64EdEEviiiPKT1_S3_S3_PS1_.has_recursion, 0
	.set _ZN9rocsparseL51gtsv_nopivot_strided_batch_crpcr_pow2_shared_kernelILj64ELj64EdEEviiiPKT1_S3_S3_PS1_.has_indirect_call, 0
	.section	.AMDGPU.csdata,"",@progbits
; Kernel info:
; codeLenInByte = 2892
; TotalNumSgprs: 18
; NumVgprs: 45
; NumAgprs: 0
; TotalNumVgprs: 45
; ScratchSize: 0
; MemoryBound: 1
; FloatMode: 240
; IeeeMode: 1
; LDSByteSize: 7680 bytes/workgroup (compile time only)
; SGPRBlocks: 12
; VGPRBlocks: 9
; NumSGPRsForWavesPerEU: 97
; NumVGPRsForWavesPerEU: 73
; AccumOffset: 48
; Occupancy: 6
; WaveLimiterHint : 1
; COMPUTE_PGM_RSRC2:SCRATCH_EN: 0
; COMPUTE_PGM_RSRC2:USER_SGPR: 2
; COMPUTE_PGM_RSRC2:TRAP_HANDLER: 0
; COMPUTE_PGM_RSRC2:TGID_X_EN: 1
; COMPUTE_PGM_RSRC2:TGID_Y_EN: 0
; COMPUTE_PGM_RSRC2:TGID_Z_EN: 0
; COMPUTE_PGM_RSRC2:TIDIG_COMP_CNT: 0
; COMPUTE_PGM_RSRC3_GFX90A:ACCUM_OFFSET: 11
; COMPUTE_PGM_RSRC3_GFX90A:TG_SPLIT: 0
	.section	.text._ZN9rocsparseL51gtsv_nopivot_strided_batch_crpcr_pow2_shared_kernelILj128ELj64EdEEviiiPKT1_S3_S3_PS1_,"axG",@progbits,_ZN9rocsparseL51gtsv_nopivot_strided_batch_crpcr_pow2_shared_kernelILj128ELj64EdEEviiiPKT1_S3_S3_PS1_,comdat
	.globl	_ZN9rocsparseL51gtsv_nopivot_strided_batch_crpcr_pow2_shared_kernelILj128ELj64EdEEviiiPKT1_S3_S3_PS1_ ; -- Begin function _ZN9rocsparseL51gtsv_nopivot_strided_batch_crpcr_pow2_shared_kernelILj128ELj64EdEEviiiPKT1_S3_S3_PS1_
	.p2align	8
	.type	_ZN9rocsparseL51gtsv_nopivot_strided_batch_crpcr_pow2_shared_kernelILj128ELj64EdEEviiiPKT1_S3_S3_PS1_,@function
_ZN9rocsparseL51gtsv_nopivot_strided_batch_crpcr_pow2_shared_kernelILj128ELj64EdEEviiiPKT1_S3_S3_PS1_: ; @_ZN9rocsparseL51gtsv_nopivot_strided_batch_crpcr_pow2_shared_kernelILj128ELj64EdEEviiiPKT1_S3_S3_PS1_
; %bb.0:
	s_load_dword s3, s[0:1], 0x8
	s_load_dwordx8 s[4:11], s[0:1], 0x10
	v_mov_b32_e32 v5, 0
	s_movk_i32 s0, 0x80
	v_lshlrev_b32_e32 v1, 3, v0
	s_waitcnt lgkmcnt(0)
	s_mul_i32 s3, s3, s2
	v_add_u32_e32 v2, s3, v0
	v_ashrrev_i32_e32 v3, 31, v2
	v_add_u32_e32 v4, 0x80, v2
	v_lshlrev_b64 v[2:3], 3, v[2:3]
	v_lshlrev_b64 v[4:5], 3, v[4:5]
	v_lshl_add_u64 v[6:7], s[4:5], 0, v[2:3]
	v_lshl_add_u64 v[8:9], s[4:5], 0, v[4:5]
	global_load_dwordx2 v[10:11], v[6:7], off
	global_load_dwordx2 v[12:13], v[8:9], off
	v_lshl_add_u64 v[6:7], s[6:7], 0, v[2:3]
	v_lshl_add_u64 v[8:9], s[6:7], 0, v[4:5]
	global_load_dwordx2 v[14:15], v[6:7], off
	global_load_dwordx2 v[16:17], v[8:9], off
	v_lshl_add_u64 v[6:7], s[8:9], 0, v[2:3]
	v_lshl_add_u64 v[8:9], s[8:9], 0, v[4:5]
	v_lshl_add_u64 v[2:3], s[10:11], 0, v[2:3]
	global_load_dwordx2 v[20:21], v[6:7], off
	global_load_dwordx2 v[22:23], v[8:9], off
	v_lshl_add_u64 v[4:5], s[10:11], 0, v[4:5]
	global_load_dwordx2 v[6:7], v[2:3], off
	global_load_dwordx2 v[8:9], v[4:5], off
	v_add_u32_e32 v19, 1, v0
	v_cmp_gt_u32_e64 s[0:1], s0, v0
	s_waitcnt vmcnt(6)
	ds_write2st64_b64 v1, v[10:11], v[12:13] offset1:2
	s_waitcnt vmcnt(4)
	ds_write2st64_b64 v1, v[14:15], v[16:17] offset0:4 offset1:6
	s_waitcnt vmcnt(2)
	ds_write2st64_b64 v1, v[20:21], v[22:23] offset0:8 offset1:10
	;; [unrolled: 2-line block ×3, first 2 shown]
	s_waitcnt lgkmcnt(0)
	s_barrier
	s_and_saveexec_b64 s[2:3], s[0:1]
	s_cbranch_execz .LBB28_2
; %bb.1:
	v_lshlrev_b32_e32 v18, 4, v19
	v_add_u32_e32 v6, -16, v18
	ds_read_b128 v[6:9], v6
	ds_read_b128 v[10:13], v18 offset:2032
	ds_read_b128 v[14:17], v18 offset:4080
	;; [unrolled: 1-line block ×3, first 2 shown]
	v_lshlrev_b32_e32 v24, 1, v19
	v_min_u32_e32 v26, 0xff, v24
	s_waitcnt lgkmcnt(2)
	v_div_scale_f64 v[28:29], s[4:5], v[10:11], v[10:11], v[8:9]
	v_rcp_f64_e32 v[30:31], v[28:29]
	v_lshlrev_b32_e32 v39, 3, v26
	v_div_scale_f64 v[32:33], vcc, v[8:9], v[10:11], v[8:9]
	v_fma_f64 v[24:25], -v[28:29], v[30:31], 1.0
	v_fmac_f64_e32 v[30:31], v[30:31], v[24:25]
	v_fma_f64 v[24:25], -v[28:29], v[30:31], 1.0
	v_fmac_f64_e32 v[30:31], v[30:31], v[24:25]
	ds_read2st64_b64 v[24:27], v39 offset1:4
	v_mul_f64 v[34:35], v[32:33], v[30:31]
	v_fma_f64 v[28:29], -v[28:29], v[34:35], v[32:33]
	v_div_fmas_f64 v[28:29], v[28:29], v[30:31], v[34:35]
	v_div_fixup_f64 v[28:29], v[28:29], v[10:11], v[8:9]
	s_waitcnt lgkmcnt(0)
	v_div_scale_f64 v[32:33], s[4:5], v[26:27], v[26:27], v[16:17]
	v_rcp_f64_e32 v[36:37], v[32:33]
	v_add_u32_e32 v38, -8, v18
	v_fma_f64 v[12:13], -v[28:29], v[14:15], v[12:13]
	v_fma_f64 v[14:15], -v[28:29], v[20:21], v[22:23]
	v_fma_f64 v[8:9], -v[32:33], v[36:37], 1.0
	v_fmac_f64_e32 v[36:37], v[36:37], v[8:9]
	v_fma_f64 v[8:9], -v[32:33], v[36:37], 1.0
	v_fmac_f64_e32 v[36:37], v[36:37], v[8:9]
	v_div_scale_f64 v[8:9], vcc, v[16:17], v[26:27], v[16:17]
	v_mul_f64 v[10:11], v[8:9], v[36:37]
	v_fma_f64 v[8:9], -v[32:33], v[10:11], v[8:9]
	v_mul_f64 v[6:7], v[28:29], -v[6:7]
	s_nop 0
	v_div_fmas_f64 v[30:31], v[8:9], v[36:37], v[10:11]
	ds_read2st64_b64 v[8:11], v39 offset0:8 offset1:16
	v_div_fixup_f64 v[16:17], v[30:31], v[26:27], v[16:17]
	v_fma_f64 v[12:13], -v[16:17], v[24:25], v[12:13]
	ds_write_b64 v38, v[6:7]
	s_waitcnt lgkmcnt(1)
	v_fma_f64 v[10:11], -v[16:17], v[10:11], v[14:15]
	v_mul_f64 v[6:7], v[16:17], -v[8:9]
	v_add_u32_e32 v8, 0x1f8, v18
	ds_write_b64 v18, v[10:11] offset:8184
	ds_write2st64_b64 v8, v[12:13], v[6:7] offset0:3 offset1:7
.LBB28_2:
	s_or_b64 exec, exec, s[2:3]
	v_cmp_gt_u32_e64 s[2:3], 64, v0
	v_lshlrev_b32_e32 v14, 5, v19
	s_waitcnt lgkmcnt(0)
	s_barrier
	s_and_saveexec_b64 s[4:5], s[2:3]
	s_cbranch_execz .LBB28_4
; %bb.3:
	v_add_u32_e32 v15, -8, v14
	ds_read2_b64 v[6:9], v14 offset0:253 offset1:255
	ds_read_b64 v[16:17], v15
	v_subrev_u32_e32 v10, 24, v14
	ds_read_b64 v[32:33], v10
	v_lshl_or_b32 v10, v19, 2, 1
	v_min_u32_e32 v18, 0xff, v10
	s_waitcnt lgkmcnt(1)
	v_div_scale_f64 v[24:25], s[6:7], v[6:7], v[6:7], v[16:17]
	v_rcp_f64_e32 v[26:27], v[24:25]
	v_add_u32_e32 v12, 0x800, v14
	v_lshlrev_b32_e32 v18, 3, v18
	ds_read2st64_b64 v[20:23], v18 offset1:4
	v_fma_f64 v[10:11], -v[24:25], v[26:27], 1.0
	v_fmac_f64_e32 v[26:27], v[26:27], v[10:11]
	v_fma_f64 v[10:11], -v[24:25], v[26:27], 1.0
	v_fmac_f64_e32 v[26:27], v[26:27], v[10:11]
	ds_read2_b64 v[10:13], v12 offset0:253 offset1:255
	v_div_scale_f64 v[28:29], vcc, v[16:17], v[6:7], v[16:17]
	v_mul_f64 v[30:31], v[28:29], v[26:27]
	v_fma_f64 v[24:25], -v[24:25], v[30:31], v[28:29]
	s_waitcnt lgkmcnt(0)
	v_div_scale_f64 v[28:29], s[6:7], v[22:23], v[22:23], v[12:13]
	v_rcp_f64_e32 v[34:35], v[28:29]
	v_div_fmas_f64 v[24:25], v[24:25], v[26:27], v[30:31]
	v_div_fixup_f64 v[6:7], v[24:25], v[6:7], v[16:17]
	v_fma_f64 v[8:9], -v[6:7], v[10:11], v[8:9]
	v_fma_f64 v[16:17], -v[28:29], v[34:35], 1.0
	v_fmac_f64_e32 v[34:35], v[34:35], v[16:17]
	v_fma_f64 v[16:17], -v[28:29], v[34:35], 1.0
	v_fmac_f64_e32 v[34:35], v[34:35], v[16:17]
	v_div_scale_f64 v[16:17], vcc, v[12:13], v[22:23], v[12:13]
	v_mul_f64 v[24:25], v[16:17], v[34:35]
	v_fma_f64 v[16:17], -v[28:29], v[24:25], v[16:17]
	s_nop 1
	v_div_fmas_f64 v[16:17], v[16:17], v[34:35], v[24:25]
	v_add_u32_e32 v24, 0x1800, v14
	ds_read2_b64 v[24:27], v24 offset0:253 offset1:255
	ds_read2st64_b64 v[28:31], v18 offset0:8 offset1:16
	v_div_fixup_f64 v[12:13], v[16:17], v[22:23], v[12:13]
	v_fma_f64 v[8:9], -v[12:13], v[20:21], v[8:9]
	s_waitcnt lgkmcnt(1)
	v_fma_f64 v[10:11], -v[6:7], v[24:25], v[26:27]
	s_waitcnt lgkmcnt(0)
	v_fma_f64 v[10:11], -v[12:13], v[30:31], v[10:11]
	v_mul_f64 v[6:7], v[6:7], -v[32:33]
	ds_write_b64 v14, v[10:11] offset:8184
	ds_write_b64 v15, v[6:7]
	v_mul_f64 v[6:7], v[12:13], -v[28:29]
	v_add_u32_e32 v10, 0x1f8, v14
	ds_write2st64_b64 v10, v[8:9], v[6:7] offset0:3 offset1:7
.LBB28_4:
	s_or_b64 exec, exec, s[4:5]
	s_waitcnt lgkmcnt(0)
	s_barrier
	s_and_saveexec_b64 s[4:5], s[2:3]
	s_cbranch_execz .LBB28_6
; %bb.5:
	v_add_u32_e32 v10, -8, v14
	v_add_u32_e32 v6, 0x1f8, v14
	ds_read2st64_b64 v[6:9], v6 offset0:3 offset1:7
	ds_read_b64 v[10:11], v10
	ds_read_b64 v[12:13], v14 offset:8184
	s_waitcnt lgkmcnt(1)
	ds_write2st64_b64 v1, v[10:11], v[6:7] offset0:20 offset1:21
	s_waitcnt lgkmcnt(1)
	ds_write2st64_b64 v1, v[8:9], v[12:13] offset0:22 offset1:24
.LBB28_6:
	s_or_b64 exec, exec, s[4:5]
	v_or_b32_e32 v16, 0x2800, v1
	v_or_b32_e32 v18, 0x2c00, v1
	v_add_u32_e32 v17, 0x2a00, v1
	v_or_b32_e32 v15, 0x3000, v1
	s_waitcnt lgkmcnt(0)
	s_barrier
                                        ; implicit-def: $vgpr8_vgpr9
                                        ; implicit-def: $vgpr12_vgpr13
                                        ; implicit-def: $vgpr6_vgpr7
                                        ; implicit-def: $vgpr10_vgpr11
	s_and_saveexec_b64 s[4:5], s[2:3]
	s_cbranch_execz .LBB28_8
; %bb.7:
	v_sub_u32_e64 v6, v0, 1 clamp
	v_lshlrev_b32_e32 v38, 3, v6
	ds_read2st64_b64 v[10:13], v38 offset0:20 offset1:21
	ds_read_b64 v[20:21], v16
	ds_read_b64 v[28:29], v18
	;; [unrolled: 1-line block ×4, first 2 shown]
	v_min_u32_e32 v6, 63, v19
	s_waitcnt lgkmcnt(3)
	v_div_scale_f64 v[22:23], s[6:7], v[12:13], v[12:13], v[20:21]
	v_rcp_f64_e32 v[24:25], v[22:23]
	v_lshlrev_b32_e32 v19, 3, v6
	v_div_scale_f64 v[26:27], vcc, v[20:21], v[12:13], v[20:21]
	v_fma_f64 v[6:7], -v[22:23], v[24:25], 1.0
	v_fmac_f64_e32 v[24:25], v[24:25], v[6:7]
	v_fma_f64 v[6:7], -v[22:23], v[24:25], 1.0
	v_fmac_f64_e32 v[24:25], v[24:25], v[6:7]
	ds_read2st64_b64 v[6:9], v19 offset0:20 offset1:21
	v_mul_f64 v[34:35], v[26:27], v[24:25]
	v_fma_f64 v[22:23], -v[22:23], v[34:35], v[26:27]
	v_div_fmas_f64 v[22:23], v[22:23], v[24:25], v[34:35]
	v_div_fixup_f64 v[12:13], v[22:23], v[12:13], v[20:21]
	s_waitcnt lgkmcnt(0)
	v_div_scale_f64 v[26:27], s[6:7], v[8:9], v[8:9], v[28:29]
	v_rcp_f64_e32 v[36:37], v[26:27]
	v_mul_f64 v[10:11], v[12:13], -v[10:11]
	v_fma_f64 v[20:21], -v[26:27], v[36:37], 1.0
	v_fmac_f64_e32 v[36:37], v[36:37], v[20:21]
	v_fma_f64 v[20:21], -v[26:27], v[36:37], 1.0
	v_fmac_f64_e32 v[36:37], v[36:37], v[20:21]
	v_div_scale_f64 v[20:21], vcc, v[28:29], v[8:9], v[28:29]
	v_mul_f64 v[24:25], v[20:21], v[36:37]
	v_fma_f64 v[26:27], -v[26:27], v[24:25], v[20:21]
	ds_read2st64_b64 v[20:23], v38 offset0:22 offset1:24
	s_nop 0
	v_div_fmas_f64 v[34:35], v[26:27], v[36:37], v[24:25]
	ds_read2st64_b64 v[24:27], v19 offset0:22 offset1:24
	v_div_fixup_f64 v[28:29], v[34:35], v[8:9], v[28:29]
	s_waitcnt lgkmcnt(1)
	v_fma_f64 v[8:9], -v[12:13], v[20:21], v[30:31]
	v_fma_f64 v[6:7], -v[28:29], v[6:7], v[8:9]
	;; [unrolled: 1-line block ×3, first 2 shown]
	s_waitcnt lgkmcnt(0)
	v_fma_f64 v[8:9], -v[28:29], v[26:27], v[8:9]
	v_mul_f64 v[12:13], v[28:29], -v[24:25]
.LBB28_8:
	s_or_b64 exec, exec, s[4:5]
	s_barrier
	s_and_saveexec_b64 s[4:5], s[2:3]
	s_cbranch_execz .LBB28_10
; %bb.9:
	ds_write_b64 v17, v[6:7]
	ds_write_b64 v15, v[8:9]
	ds_write_b64 v16, v[10:11]
	ds_write_b64 v18, v[12:13]
.LBB28_10:
	s_or_b64 exec, exec, s[4:5]
	s_waitcnt lgkmcnt(0)
	s_barrier
	s_and_saveexec_b64 s[4:5], s[2:3]
	s_cbranch_execz .LBB28_12
; %bb.11:
	v_sub_u32_e64 v6, v0, 2 clamp
	v_lshlrev_b32_e32 v19, 3, v6
	ds_read2st64_b64 v[10:13], v19 offset0:20 offset1:21
	ds_read_b64 v[20:21], v16
	ds_read_b64 v[28:29], v18
	ds_read_b64 v[30:31], v17
	ds_read_b64 v[32:33], v15
	v_min_u32_e32 v6, 61, v0
	s_waitcnt lgkmcnt(3)
	v_div_scale_f64 v[22:23], s[6:7], v[12:13], v[12:13], v[20:21]
	v_rcp_f64_e32 v[24:25], v[22:23]
	v_lshlrev_b32_e32 v8, 3, v6
	v_add_u32_e32 v38, 16, v8
	v_div_scale_f64 v[26:27], vcc, v[20:21], v[12:13], v[20:21]
	v_fma_f64 v[6:7], -v[22:23], v[24:25], 1.0
	v_fmac_f64_e32 v[24:25], v[24:25], v[6:7]
	v_fma_f64 v[6:7], -v[22:23], v[24:25], 1.0
	v_fmac_f64_e32 v[24:25], v[24:25], v[6:7]
	ds_read2st64_b64 v[6:9], v38 offset0:20 offset1:21
	v_mul_f64 v[34:35], v[26:27], v[24:25]
	v_fma_f64 v[22:23], -v[22:23], v[34:35], v[26:27]
	v_div_fmas_f64 v[22:23], v[22:23], v[24:25], v[34:35]
	v_div_fixup_f64 v[12:13], v[22:23], v[12:13], v[20:21]
	s_waitcnt lgkmcnt(0)
	v_div_scale_f64 v[26:27], s[6:7], v[8:9], v[8:9], v[28:29]
	v_rcp_f64_e32 v[36:37], v[26:27]
	v_mul_f64 v[10:11], v[12:13], -v[10:11]
	v_fma_f64 v[20:21], -v[26:27], v[36:37], 1.0
	v_fmac_f64_e32 v[36:37], v[36:37], v[20:21]
	v_fma_f64 v[20:21], -v[26:27], v[36:37], 1.0
	v_fmac_f64_e32 v[36:37], v[36:37], v[20:21]
	v_div_scale_f64 v[20:21], vcc, v[28:29], v[8:9], v[28:29]
	v_mul_f64 v[24:25], v[20:21], v[36:37]
	v_fma_f64 v[26:27], -v[26:27], v[24:25], v[20:21]
	ds_read2st64_b64 v[20:23], v19 offset0:22 offset1:24
	s_nop 0
	v_div_fmas_f64 v[34:35], v[26:27], v[36:37], v[24:25]
	ds_read2st64_b64 v[24:27], v38 offset0:22 offset1:24
	v_div_fixup_f64 v[28:29], v[34:35], v[8:9], v[28:29]
	s_waitcnt lgkmcnt(1)
	v_fma_f64 v[8:9], -v[12:13], v[20:21], v[30:31]
	v_fma_f64 v[6:7], -v[28:29], v[6:7], v[8:9]
	v_fma_f64 v[8:9], -v[12:13], v[22:23], v[32:33]
	s_waitcnt lgkmcnt(0)
	v_fma_f64 v[8:9], -v[28:29], v[26:27], v[8:9]
	v_mul_f64 v[12:13], v[28:29], -v[24:25]
.LBB28_12:
	s_or_b64 exec, exec, s[4:5]
	s_barrier
	s_and_saveexec_b64 s[4:5], s[2:3]
	s_cbranch_execz .LBB28_14
; %bb.13:
	ds_write_b64 v17, v[6:7]
	ds_write_b64 v15, v[8:9]
	ds_write_b64 v16, v[10:11]
	ds_write_b64 v18, v[12:13]
.LBB28_14:
	s_or_b64 exec, exec, s[4:5]
	s_waitcnt lgkmcnt(0)
	s_barrier
	s_and_saveexec_b64 s[4:5], s[2:3]
	s_cbranch_execz .LBB28_16
; %bb.15:
	v_sub_u32_e64 v6, v0, 4 clamp
	v_lshlrev_b32_e32 v19, 3, v6
	ds_read2st64_b64 v[10:13], v19 offset0:20 offset1:21
	ds_read_b64 v[20:21], v16
	ds_read_b64 v[28:29], v18
	ds_read_b64 v[30:31], v17
	ds_read_b64 v[32:33], v15
	v_min_u32_e32 v6, 59, v0
	s_waitcnt lgkmcnt(3)
	v_div_scale_f64 v[22:23], s[6:7], v[12:13], v[12:13], v[20:21]
	v_rcp_f64_e32 v[24:25], v[22:23]
	v_lshlrev_b32_e32 v8, 3, v6
	v_add_u32_e32 v38, 32, v8
	v_div_scale_f64 v[26:27], vcc, v[20:21], v[12:13], v[20:21]
	v_fma_f64 v[6:7], -v[22:23], v[24:25], 1.0
	v_fmac_f64_e32 v[24:25], v[24:25], v[6:7]
	v_fma_f64 v[6:7], -v[22:23], v[24:25], 1.0
	v_fmac_f64_e32 v[24:25], v[24:25], v[6:7]
	ds_read2st64_b64 v[6:9], v38 offset0:20 offset1:21
	v_mul_f64 v[34:35], v[26:27], v[24:25]
	v_fma_f64 v[22:23], -v[22:23], v[34:35], v[26:27]
	v_div_fmas_f64 v[22:23], v[22:23], v[24:25], v[34:35]
	v_div_fixup_f64 v[12:13], v[22:23], v[12:13], v[20:21]
	s_waitcnt lgkmcnt(0)
	v_div_scale_f64 v[26:27], s[6:7], v[8:9], v[8:9], v[28:29]
	v_rcp_f64_e32 v[36:37], v[26:27]
	v_mul_f64 v[10:11], v[12:13], -v[10:11]
	v_fma_f64 v[20:21], -v[26:27], v[36:37], 1.0
	v_fmac_f64_e32 v[36:37], v[36:37], v[20:21]
	v_fma_f64 v[20:21], -v[26:27], v[36:37], 1.0
	v_fmac_f64_e32 v[36:37], v[36:37], v[20:21]
	v_div_scale_f64 v[20:21], vcc, v[28:29], v[8:9], v[28:29]
	v_mul_f64 v[24:25], v[20:21], v[36:37]
	v_fma_f64 v[26:27], -v[26:27], v[24:25], v[20:21]
	ds_read2st64_b64 v[20:23], v19 offset0:22 offset1:24
	s_nop 0
	v_div_fmas_f64 v[34:35], v[26:27], v[36:37], v[24:25]
	ds_read2st64_b64 v[24:27], v38 offset0:22 offset1:24
	v_div_fixup_f64 v[28:29], v[34:35], v[8:9], v[28:29]
	s_waitcnt lgkmcnt(1)
	v_fma_f64 v[8:9], -v[12:13], v[20:21], v[30:31]
	v_fma_f64 v[6:7], -v[28:29], v[6:7], v[8:9]
	v_fma_f64 v[8:9], -v[12:13], v[22:23], v[32:33]
	s_waitcnt lgkmcnt(0)
	v_fma_f64 v[8:9], -v[28:29], v[26:27], v[8:9]
	v_mul_f64 v[12:13], v[28:29], -v[24:25]
.LBB28_16:
	;; [unrolled: 63-line block ×4, first 2 shown]
	s_or_b64 exec, exec, s[4:5]
	s_barrier
	s_and_saveexec_b64 s[4:5], s[2:3]
	s_cbranch_execz .LBB28_26
; %bb.25:
	ds_write_b64 v17, v[6:7]
	ds_write_b64 v15, v[8:9]
	;; [unrolled: 1-line block ×4, first 2 shown]
.LBB28_26:
	s_or_b64 exec, exec, s[4:5]
	v_cmp_gt_u32_e32 vcc, 32, v0
	s_waitcnt lgkmcnt(0)
	s_barrier
	s_and_saveexec_b64 s[4:5], vcc
	s_cbranch_execz .LBB28_28
; %bb.27:
	ds_read_b64 v[18:19], v18
	ds_read_b64 v[20:21], v16 offset:256
	ds_read2_b64 v[6:9], v17 offset1:32
	s_waitcnt lgkmcnt(1)
	v_mul_f64 v[10:11], v[18:19], v[20:21]
	s_waitcnt lgkmcnt(0)
	v_fma_f64 v[16:17], v[8:9], v[6:7], -v[10:11]
	v_div_scale_f64 v[22:23], s[6:7], v[16:17], v[16:17], 1.0
	v_rcp_f64_e32 v[24:25], v[22:23]
	ds_read2_b64 v[10:13], v15 offset1:32
	v_div_scale_f64 v[26:27], vcc, 1.0, v[16:17], 1.0
	v_fma_f64 v[28:29], -v[22:23], v[24:25], 1.0
	v_fmac_f64_e32 v[24:25], v[24:25], v[28:29]
	v_fma_f64 v[28:29], -v[22:23], v[24:25], 1.0
	v_fmac_f64_e32 v[24:25], v[24:25], v[28:29]
	v_mul_f64 v[28:29], v[26:27], v[24:25]
	v_fma_f64 v[22:23], -v[22:23], v[28:29], v[26:27]
	s_waitcnt lgkmcnt(0)
	v_mul_f64 v[18:19], v[18:19], v[12:13]
	v_div_fmas_f64 v[22:23], v[22:23], v[24:25], v[28:29]
	v_fma_f64 v[8:9], v[8:9], v[10:11], -v[18:19]
	v_mul_f64 v[10:11], v[20:21], v[10:11]
	v_div_fixup_f64 v[16:17], v[22:23], v[16:17], 1.0
	v_fma_f64 v[6:7], v[6:7], v[12:13], -v[10:11]
	v_mul_f64 v[8:9], v[16:17], v[8:9]
	v_mul_f64 v[6:7], v[16:17], v[6:7]
	v_add_u32_e32 v10, 0x2800, v1
	ds_write2_b64 v10, v[8:9], v[6:7] offset0:192 offset1:224
.LBB28_28:
	s_or_b64 exec, exec, s[4:5]
	s_waitcnt lgkmcnt(0)
	s_barrier
	s_and_saveexec_b64 s[4:5], s[2:3]
	s_cbranch_execz .LBB28_30
; %bb.29:
	ds_read_b64 v[6:7], v1 offset:11776
	s_waitcnt lgkmcnt(0)
	ds_write_b64 v14, v[6:7] offset:6136
.LBB28_30:
	s_or_b64 exec, exec, s[4:5]
	s_waitcnt lgkmcnt(0)
	s_barrier
	s_and_saveexec_b64 s[4:5], s[2:3]
	s_cbranch_execz .LBB28_34
; %bb.31:
	v_lshlrev_b32_e32 v6, 5, v0
	ds_read_b64 v[6:7], v6 offset:8200
	v_lshlrev_b32_e32 v8, 2, v0
	v_cmp_ne_u32_e32 vcc, 0, v0
	v_lshlrev_b32_e32 v8, 3, v8
	s_and_saveexec_b64 s[2:3], vcc
	s_cbranch_execz .LBB28_33
; %bb.32:
	ds_read_b64 v[10:11], v8 offset:8
	ds_read_b64 v[12:13], v8 offset:6136
	s_waitcnt lgkmcnt(0)
	v_fma_f64 v[6:7], -v[10:11], v[12:13], v[6:7]
.LBB28_33:
	s_or_b64 exec, exec, s[2:3]
	v_add_u32_e32 v9, 8, v8
	ds_read_b64 v[14:15], v8 offset:6168
	ds_read2st64_b64 v[10:13], v9 offset0:4 offset1:8
	s_waitcnt lgkmcnt(0)
	v_fma_f64 v[6:7], -v[12:13], v[14:15], v[6:7]
	v_div_scale_f64 v[12:13], s[2:3], v[10:11], v[10:11], v[6:7]
	v_rcp_f64_e32 v[14:15], v[12:13]
	v_div_scale_f64 v[16:17], vcc, v[6:7], v[10:11], v[6:7]
	v_fma_f64 v[18:19], -v[12:13], v[14:15], 1.0
	v_fmac_f64_e32 v[14:15], v[14:15], v[18:19]
	v_fma_f64 v[18:19], -v[12:13], v[14:15], 1.0
	v_fmac_f64_e32 v[14:15], v[14:15], v[18:19]
	v_mul_f64 v[18:19], v[16:17], v[14:15]
	v_fma_f64 v[12:13], -v[12:13], v[18:19], v[16:17]
	v_div_fmas_f64 v[12:13], v[12:13], v[14:15], v[18:19]
	v_div_fixup_f64 v[6:7], v[12:13], v[10:11], v[6:7]
	ds_write_b64 v8, v[6:7] offset:6152
.LBB28_34:
	s_or_b64 exec, exec, s[4:5]
	s_waitcnt lgkmcnt(0)
	s_barrier
	s_and_saveexec_b64 s[2:3], s[0:1]
	s_cbranch_execz .LBB28_38
; %bb.35:
	v_lshlrev_b32_e32 v6, 4, v0
	ds_read_b64 v[6:7], v6 offset:8192
	v_lshlrev_b32_e32 v8, 1, v0
	v_cmp_ne_u32_e32 vcc, 0, v0
	v_lshlrev_b32_e32 v0, 3, v8
	s_and_saveexec_b64 s[0:1], vcc
	s_cbranch_execz .LBB28_37
; %bb.36:
	ds_read_b64 v[8:9], v0
	ds_read_b64 v[10:11], v0 offset:6136
	s_waitcnt lgkmcnt(0)
	v_fma_f64 v[6:7], -v[8:9], v[10:11], v[6:7]
.LBB28_37:
	s_or_b64 exec, exec, s[0:1]
	ds_read2st64_b64 v[8:11], v0 offset0:4 offset1:8
	ds_read_b64 v[12:13], v0 offset:6152
	s_waitcnt lgkmcnt(0)
	v_fma_f64 v[6:7], -v[10:11], v[12:13], v[6:7]
	v_div_scale_f64 v[10:11], s[0:1], v[8:9], v[8:9], v[6:7]
	v_rcp_f64_e32 v[12:13], v[10:11]
	v_div_scale_f64 v[14:15], vcc, v[6:7], v[8:9], v[6:7]
	v_fma_f64 v[16:17], -v[10:11], v[12:13], 1.0
	v_fmac_f64_e32 v[12:13], v[12:13], v[16:17]
	v_fma_f64 v[16:17], -v[10:11], v[12:13], 1.0
	v_fmac_f64_e32 v[12:13], v[12:13], v[16:17]
	v_mul_f64 v[16:17], v[14:15], v[12:13]
	v_fma_f64 v[10:11], -v[10:11], v[16:17], v[14:15]
	v_div_fmas_f64 v[10:11], v[10:11], v[12:13], v[16:17]
	v_div_fixup_f64 v[6:7], v[10:11], v[8:9], v[6:7]
	ds_write_b64 v0, v[6:7] offset:6144
.LBB28_38:
	s_or_b64 exec, exec, s[2:3]
	s_waitcnt lgkmcnt(0)
	s_barrier
	ds_read2st64_b64 v[6:9], v1 offset0:12 offset1:14
	s_waitcnt lgkmcnt(0)
	global_store_dwordx2 v[2:3], v[6:7], off
	global_store_dwordx2 v[4:5], v[8:9], off
	s_endpgm
	.section	.rodata,"a",@progbits
	.p2align	6, 0x0
	.amdhsa_kernel _ZN9rocsparseL51gtsv_nopivot_strided_batch_crpcr_pow2_shared_kernelILj128ELj64EdEEviiiPKT1_S3_S3_PS1_
		.amdhsa_group_segment_fixed_size 12800
		.amdhsa_private_segment_fixed_size 0
		.amdhsa_kernarg_size 48
		.amdhsa_user_sgpr_count 2
		.amdhsa_user_sgpr_dispatch_ptr 0
		.amdhsa_user_sgpr_queue_ptr 0
		.amdhsa_user_sgpr_kernarg_segment_ptr 1
		.amdhsa_user_sgpr_dispatch_id 0
		.amdhsa_user_sgpr_kernarg_preload_length 0
		.amdhsa_user_sgpr_kernarg_preload_offset 0
		.amdhsa_user_sgpr_private_segment_size 0
		.amdhsa_uses_dynamic_stack 0
		.amdhsa_enable_private_segment 0
		.amdhsa_system_sgpr_workgroup_id_x 1
		.amdhsa_system_sgpr_workgroup_id_y 0
		.amdhsa_system_sgpr_workgroup_id_z 0
		.amdhsa_system_sgpr_workgroup_info 0
		.amdhsa_system_vgpr_workitem_id 0
		.amdhsa_next_free_vgpr 73
		.amdhsa_next_free_sgpr 91
		.amdhsa_accum_offset 40
		.amdhsa_reserve_vcc 1
		.amdhsa_float_round_mode_32 0
		.amdhsa_float_round_mode_16_64 0
		.amdhsa_float_denorm_mode_32 3
		.amdhsa_float_denorm_mode_16_64 3
		.amdhsa_dx10_clamp 1
		.amdhsa_ieee_mode 1
		.amdhsa_fp16_overflow 0
		.amdhsa_tg_split 0
		.amdhsa_exception_fp_ieee_invalid_op 0
		.amdhsa_exception_fp_denorm_src 0
		.amdhsa_exception_fp_ieee_div_zero 0
		.amdhsa_exception_fp_ieee_overflow 0
		.amdhsa_exception_fp_ieee_underflow 0
		.amdhsa_exception_fp_ieee_inexact 0
		.amdhsa_exception_int_div_zero 0
	.end_amdhsa_kernel
	.section	.text._ZN9rocsparseL51gtsv_nopivot_strided_batch_crpcr_pow2_shared_kernelILj128ELj64EdEEviiiPKT1_S3_S3_PS1_,"axG",@progbits,_ZN9rocsparseL51gtsv_nopivot_strided_batch_crpcr_pow2_shared_kernelILj128ELj64EdEEviiiPKT1_S3_S3_PS1_,comdat
.Lfunc_end28:
	.size	_ZN9rocsparseL51gtsv_nopivot_strided_batch_crpcr_pow2_shared_kernelILj128ELj64EdEEviiiPKT1_S3_S3_PS1_, .Lfunc_end28-_ZN9rocsparseL51gtsv_nopivot_strided_batch_crpcr_pow2_shared_kernelILj128ELj64EdEEviiiPKT1_S3_S3_PS1_
                                        ; -- End function
	.set _ZN9rocsparseL51gtsv_nopivot_strided_batch_crpcr_pow2_shared_kernelILj128ELj64EdEEviiiPKT1_S3_S3_PS1_.num_vgpr, 40
	.set _ZN9rocsparseL51gtsv_nopivot_strided_batch_crpcr_pow2_shared_kernelILj128ELj64EdEEviiiPKT1_S3_S3_PS1_.num_agpr, 0
	.set _ZN9rocsparseL51gtsv_nopivot_strided_batch_crpcr_pow2_shared_kernelILj128ELj64EdEEviiiPKT1_S3_S3_PS1_.numbered_sgpr, 12
	.set _ZN9rocsparseL51gtsv_nopivot_strided_batch_crpcr_pow2_shared_kernelILj128ELj64EdEEviiiPKT1_S3_S3_PS1_.num_named_barrier, 0
	.set _ZN9rocsparseL51gtsv_nopivot_strided_batch_crpcr_pow2_shared_kernelILj128ELj64EdEEviiiPKT1_S3_S3_PS1_.private_seg_size, 0
	.set _ZN9rocsparseL51gtsv_nopivot_strided_batch_crpcr_pow2_shared_kernelILj128ELj64EdEEviiiPKT1_S3_S3_PS1_.uses_vcc, 1
	.set _ZN9rocsparseL51gtsv_nopivot_strided_batch_crpcr_pow2_shared_kernelILj128ELj64EdEEviiiPKT1_S3_S3_PS1_.uses_flat_scratch, 0
	.set _ZN9rocsparseL51gtsv_nopivot_strided_batch_crpcr_pow2_shared_kernelILj128ELj64EdEEviiiPKT1_S3_S3_PS1_.has_dyn_sized_stack, 0
	.set _ZN9rocsparseL51gtsv_nopivot_strided_batch_crpcr_pow2_shared_kernelILj128ELj64EdEEviiiPKT1_S3_S3_PS1_.has_recursion, 0
	.set _ZN9rocsparseL51gtsv_nopivot_strided_batch_crpcr_pow2_shared_kernelILj128ELj64EdEEviiiPKT1_S3_S3_PS1_.has_indirect_call, 0
	.section	.AMDGPU.csdata,"",@progbits
; Kernel info:
; codeLenInByte = 3676
; TotalNumSgprs: 18
; NumVgprs: 40
; NumAgprs: 0
; TotalNumVgprs: 40
; ScratchSize: 0
; MemoryBound: 0
; FloatMode: 240
; IeeeMode: 1
; LDSByteSize: 12800 bytes/workgroup (compile time only)
; SGPRBlocks: 12
; VGPRBlocks: 9
; NumSGPRsForWavesPerEU: 97
; NumVGPRsForWavesPerEU: 73
; AccumOffset: 40
; Occupancy: 6
; WaveLimiterHint : 0
; COMPUTE_PGM_RSRC2:SCRATCH_EN: 0
; COMPUTE_PGM_RSRC2:USER_SGPR: 2
; COMPUTE_PGM_RSRC2:TRAP_HANDLER: 0
; COMPUTE_PGM_RSRC2:TGID_X_EN: 1
; COMPUTE_PGM_RSRC2:TGID_Y_EN: 0
; COMPUTE_PGM_RSRC2:TGID_Z_EN: 0
; COMPUTE_PGM_RSRC2:TIDIG_COMP_CNT: 0
; COMPUTE_PGM_RSRC3_GFX90A:ACCUM_OFFSET: 9
; COMPUTE_PGM_RSRC3_GFX90A:TG_SPLIT: 0
	.section	.text._ZN9rocsparseL51gtsv_nopivot_strided_batch_crpcr_pow2_shared_kernelILj256ELj64EdEEviiiPKT1_S3_S3_PS1_,"axG",@progbits,_ZN9rocsparseL51gtsv_nopivot_strided_batch_crpcr_pow2_shared_kernelILj256ELj64EdEEviiiPKT1_S3_S3_PS1_,comdat
	.globl	_ZN9rocsparseL51gtsv_nopivot_strided_batch_crpcr_pow2_shared_kernelILj256ELj64EdEEviiiPKT1_S3_S3_PS1_ ; -- Begin function _ZN9rocsparseL51gtsv_nopivot_strided_batch_crpcr_pow2_shared_kernelILj256ELj64EdEEviiiPKT1_S3_S3_PS1_
	.p2align	8
	.type	_ZN9rocsparseL51gtsv_nopivot_strided_batch_crpcr_pow2_shared_kernelILj256ELj64EdEEviiiPKT1_S3_S3_PS1_,@function
_ZN9rocsparseL51gtsv_nopivot_strided_batch_crpcr_pow2_shared_kernelILj256ELj64EdEEviiiPKT1_S3_S3_PS1_: ; @_ZN9rocsparseL51gtsv_nopivot_strided_batch_crpcr_pow2_shared_kernelILj256ELj64EdEEviiiPKT1_S3_S3_PS1_
; %bb.0:
	s_load_dword s3, s[0:1], 0x8
	s_load_dwordx8 s[4:11], s[0:1], 0x10
	v_mov_b32_e32 v5, 0
	s_movk_i32 s0, 0x100
	v_lshlrev_b32_e32 v1, 3, v0
	s_waitcnt lgkmcnt(0)
	s_mul_i32 s3, s3, s2
	v_add_u32_e32 v2, s3, v0
	v_ashrrev_i32_e32 v3, 31, v2
	v_add_u32_e32 v4, 0x100, v2
	v_lshlrev_b64 v[2:3], 3, v[2:3]
	v_lshlrev_b64 v[4:5], 3, v[4:5]
	v_lshl_add_u64 v[6:7], s[4:5], 0, v[2:3]
	v_lshl_add_u64 v[8:9], s[4:5], 0, v[4:5]
	global_load_dwordx2 v[10:11], v[6:7], off
	global_load_dwordx2 v[12:13], v[8:9], off
	v_lshl_add_u64 v[6:7], s[6:7], 0, v[2:3]
	v_lshl_add_u64 v[8:9], s[6:7], 0, v[4:5]
	global_load_dwordx2 v[14:15], v[6:7], off
	global_load_dwordx2 v[16:17], v[8:9], off
	v_lshl_add_u64 v[6:7], s[8:9], 0, v[2:3]
	v_lshl_add_u64 v[8:9], s[8:9], 0, v[4:5]
	;; [unrolled: 1-line block ×3, first 2 shown]
	global_load_dwordx2 v[20:21], v[6:7], off
	global_load_dwordx2 v[22:23], v[8:9], off
	v_lshl_add_u64 v[4:5], s[10:11], 0, v[4:5]
	global_load_dwordx2 v[6:7], v[2:3], off
	global_load_dwordx2 v[8:9], v[4:5], off
	v_add_u32_e32 v19, 1, v0
	v_cmp_gt_u32_e64 s[0:1], s0, v0
	s_waitcnt vmcnt(6)
	ds_write2st64_b64 v1, v[10:11], v[12:13] offset1:4
	s_waitcnt vmcnt(4)
	ds_write2st64_b64 v1, v[14:15], v[16:17] offset0:8 offset1:12
	s_waitcnt vmcnt(2)
	ds_write2st64_b64 v1, v[20:21], v[22:23] offset0:16 offset1:20
	;; [unrolled: 2-line block ×3, first 2 shown]
	s_waitcnt lgkmcnt(0)
	s_barrier
	s_and_saveexec_b64 s[2:3], s[0:1]
	s_cbranch_execz .LBB29_2
; %bb.1:
	v_lshlrev_b32_e32 v18, 4, v19
	v_add_u32_e32 v6, -16, v18
	ds_read_b128 v[6:9], v6
	ds_read_b128 v[10:13], v18 offset:4080
	ds_read_b128 v[14:17], v18 offset:8176
	;; [unrolled: 1-line block ×3, first 2 shown]
	v_lshlrev_b32_e32 v24, 1, v19
	v_min_u32_e32 v26, 0x1ff, v24
	s_waitcnt lgkmcnt(2)
	v_div_scale_f64 v[28:29], s[4:5], v[10:11], v[10:11], v[8:9]
	v_rcp_f64_e32 v[30:31], v[28:29]
	v_lshlrev_b32_e32 v39, 3, v26
	v_div_scale_f64 v[32:33], vcc, v[8:9], v[10:11], v[8:9]
	v_fma_f64 v[24:25], -v[28:29], v[30:31], 1.0
	v_fmac_f64_e32 v[30:31], v[30:31], v[24:25]
	v_fma_f64 v[24:25], -v[28:29], v[30:31], 1.0
	v_fmac_f64_e32 v[30:31], v[30:31], v[24:25]
	ds_read2st64_b64 v[24:27], v39 offset1:8
	v_mul_f64 v[34:35], v[32:33], v[30:31]
	v_fma_f64 v[28:29], -v[28:29], v[34:35], v[32:33]
	v_div_fmas_f64 v[28:29], v[28:29], v[30:31], v[34:35]
	v_div_fixup_f64 v[28:29], v[28:29], v[10:11], v[8:9]
	s_waitcnt lgkmcnt(0)
	v_div_scale_f64 v[32:33], s[4:5], v[26:27], v[26:27], v[16:17]
	v_rcp_f64_e32 v[36:37], v[32:33]
	v_add_u32_e32 v38, -8, v18
	v_fma_f64 v[12:13], -v[28:29], v[14:15], v[12:13]
	v_fma_f64 v[14:15], -v[28:29], v[20:21], v[22:23]
	v_fma_f64 v[8:9], -v[32:33], v[36:37], 1.0
	v_fmac_f64_e32 v[36:37], v[36:37], v[8:9]
	v_fma_f64 v[8:9], -v[32:33], v[36:37], 1.0
	v_fmac_f64_e32 v[36:37], v[36:37], v[8:9]
	v_div_scale_f64 v[8:9], vcc, v[16:17], v[26:27], v[16:17]
	v_mul_f64 v[10:11], v[8:9], v[36:37]
	v_fma_f64 v[8:9], -v[32:33], v[10:11], v[8:9]
	v_mul_f64 v[6:7], v[28:29], -v[6:7]
	s_nop 0
	v_div_fmas_f64 v[30:31], v[8:9], v[36:37], v[10:11]
	ds_read2st64_b64 v[8:11], v39 offset0:16 offset1:32
	v_div_fixup_f64 v[16:17], v[30:31], v[26:27], v[16:17]
	v_fma_f64 v[12:13], -v[16:17], v[24:25], v[12:13]
	ds_write_b64 v38, v[6:7]
	s_waitcnt lgkmcnt(1)
	v_fma_f64 v[10:11], -v[16:17], v[10:11], v[14:15]
	v_mul_f64 v[6:7], v[16:17], -v[8:9]
	v_add_u32_e32 v8, 0x1f8, v18
	ds_write_b64 v18, v[10:11] offset:16376
	ds_write2st64_b64 v8, v[12:13], v[6:7] offset0:7 offset1:15
.LBB29_2:
	s_or_b64 exec, exec, s[2:3]
	s_movk_i32 s2, 0x80
	v_cmp_gt_u32_e64 s[2:3], s2, v0
	s_waitcnt lgkmcnt(0)
	s_barrier
	s_and_saveexec_b64 s[4:5], s[2:3]
	s_cbranch_execz .LBB29_4
; %bb.3:
	v_lshlrev_b32_e32 v18, 5, v19
	v_add_u32_e32 v34, -8, v18
	v_add_u32_e32 v6, 0x800, v18
	ds_read_b64 v[20:21], v34
	ds_read2_b64 v[6:9], v6 offset0:253 offset1:255
	v_subrev_u32_e32 v10, 24, v18
	ds_read_b64 v[28:29], v10
	v_lshl_or_b32 v10, v19, 2, 1
	v_min_u32_e32 v14, 0x1ff, v10
	s_waitcnt lgkmcnt(1)
	v_div_scale_f64 v[22:23], s[6:7], v[6:7], v[6:7], v[20:21]
	v_rcp_f64_e32 v[24:25], v[22:23]
	v_lshlrev_b32_e32 v35, 3, v14
	ds_read2st64_b64 v[14:17], v35 offset1:8
	v_div_scale_f64 v[26:27], vcc, v[20:21], v[6:7], v[20:21]
	v_fma_f64 v[10:11], -v[22:23], v[24:25], 1.0
	v_fmac_f64_e32 v[24:25], v[24:25], v[10:11]
	v_fma_f64 v[10:11], -v[22:23], v[24:25], 1.0
	v_fmac_f64_e32 v[24:25], v[24:25], v[10:11]
	v_add_u32_e32 v10, 0x1800, v18
	ds_read2_b64 v[10:13], v10 offset0:253 offset1:255
	v_mul_f64 v[30:31], v[26:27], v[24:25]
	v_fma_f64 v[22:23], -v[22:23], v[30:31], v[26:27]
	v_div_fmas_f64 v[22:23], v[22:23], v[24:25], v[30:31]
	v_div_fixup_f64 v[6:7], v[22:23], v[6:7], v[20:21]
	s_waitcnt lgkmcnt(0)
	v_div_scale_f64 v[26:27], s[6:7], v[16:17], v[16:17], v[12:13]
	v_rcp_f64_e32 v[32:33], v[26:27]
	v_fma_f64 v[8:9], -v[6:7], v[10:11], v[8:9]
	v_fma_f64 v[20:21], -v[26:27], v[32:33], 1.0
	v_fmac_f64_e32 v[32:33], v[32:33], v[20:21]
	v_fma_f64 v[20:21], -v[26:27], v[32:33], 1.0
	v_fmac_f64_e32 v[32:33], v[32:33], v[20:21]
	v_div_scale_f64 v[20:21], vcc, v[12:13], v[16:17], v[12:13]
	v_mul_f64 v[22:23], v[20:21], v[32:33]
	v_fma_f64 v[20:21], -v[26:27], v[22:23], v[20:21]
	s_nop 1
	v_div_fmas_f64 v[30:31], v[20:21], v[32:33], v[22:23]
	v_add_u32_e32 v20, 0x3800, v18
	ds_read2_b64 v[20:23], v20 offset0:253 offset1:255
	ds_read2st64_b64 v[24:27], v35 offset0:16 offset1:32
	v_div_fixup_f64 v[12:13], v[30:31], v[16:17], v[12:13]
	v_fma_f64 v[8:9], -v[12:13], v[14:15], v[8:9]
	s_waitcnt lgkmcnt(1)
	v_fma_f64 v[10:11], -v[6:7], v[20:21], v[22:23]
	s_waitcnt lgkmcnt(0)
	v_fma_f64 v[10:11], -v[12:13], v[26:27], v[10:11]
	v_mul_f64 v[6:7], v[6:7], -v[28:29]
	ds_write_b64 v18, v[10:11] offset:16376
	ds_write_b64 v34, v[6:7]
	v_mul_f64 v[6:7], v[12:13], -v[24:25]
	v_add_u32_e32 v10, 0x1f8, v18
	ds_write2st64_b64 v10, v[8:9], v[6:7] offset0:7 offset1:15
.LBB29_4:
	s_or_b64 exec, exec, s[4:5]
	v_cmp_gt_u32_e64 s[4:5], 64, v0
	v_lshlrev_b32_e32 v14, 6, v19
	s_waitcnt lgkmcnt(0)
	s_barrier
	s_and_saveexec_b64 s[6:7], s[4:5]
	s_cbranch_execz .LBB29_6
; %bb.5:
	v_add_u32_e32 v15, -8, v14
	v_add_u32_e32 v6, 0x800, v14
	ds_read_b64 v[16:17], v15
	ds_read2_b64 v[6:9], v6 offset0:251 offset1:255
	v_subrev_u32_e32 v10, 40, v14
	ds_read_b64 v[32:33], v10
	v_lshl_or_b32 v10, v19, 3, 3
	v_min_u32_e32 v18, 0x1ff, v10
	s_waitcnt lgkmcnt(1)
	v_div_scale_f64 v[24:25], s[8:9], v[6:7], v[6:7], v[16:17]
	v_rcp_f64_e32 v[26:27], v[24:25]
	v_lshlrev_b32_e32 v18, 3, v18
	ds_read2st64_b64 v[20:23], v18 offset1:8
	v_div_scale_f64 v[28:29], vcc, v[16:17], v[6:7], v[16:17]
	v_fma_f64 v[10:11], -v[24:25], v[26:27], 1.0
	v_fmac_f64_e32 v[26:27], v[26:27], v[10:11]
	v_fma_f64 v[10:11], -v[24:25], v[26:27], 1.0
	v_fmac_f64_e32 v[26:27], v[26:27], v[10:11]
	v_add_u32_e32 v10, 0x1800, v14
	ds_read2_b64 v[10:13], v10 offset0:251 offset1:255
	v_mul_f64 v[30:31], v[28:29], v[26:27]
	v_fma_f64 v[24:25], -v[24:25], v[30:31], v[28:29]
	v_div_fmas_f64 v[24:25], v[24:25], v[26:27], v[30:31]
	v_div_fixup_f64 v[6:7], v[24:25], v[6:7], v[16:17]
	s_waitcnt lgkmcnt(0)
	v_div_scale_f64 v[28:29], s[8:9], v[22:23], v[22:23], v[12:13]
	v_rcp_f64_e32 v[34:35], v[28:29]
	v_fma_f64 v[8:9], -v[6:7], v[10:11], v[8:9]
	v_fma_f64 v[16:17], -v[28:29], v[34:35], 1.0
	v_fmac_f64_e32 v[34:35], v[34:35], v[16:17]
	v_fma_f64 v[16:17], -v[28:29], v[34:35], 1.0
	v_fmac_f64_e32 v[34:35], v[34:35], v[16:17]
	v_div_scale_f64 v[16:17], vcc, v[12:13], v[22:23], v[12:13]
	v_mul_f64 v[24:25], v[16:17], v[34:35]
	v_fma_f64 v[16:17], -v[28:29], v[24:25], v[16:17]
	s_nop 1
	v_div_fmas_f64 v[16:17], v[16:17], v[34:35], v[24:25]
	v_add_u32_e32 v24, 0x3800, v14
	ds_read2_b64 v[24:27], v24 offset0:251 offset1:255
	ds_read2st64_b64 v[28:31], v18 offset0:16 offset1:32
	v_div_fixup_f64 v[12:13], v[16:17], v[22:23], v[12:13]
	v_fma_f64 v[8:9], -v[12:13], v[20:21], v[8:9]
	s_waitcnt lgkmcnt(1)
	v_fma_f64 v[10:11], -v[6:7], v[24:25], v[26:27]
	s_waitcnt lgkmcnt(0)
	v_fma_f64 v[10:11], -v[12:13], v[30:31], v[10:11]
	v_mul_f64 v[6:7], v[6:7], -v[32:33]
	ds_write_b64 v14, v[10:11] offset:16376
	ds_write_b64 v15, v[6:7]
	v_mul_f64 v[6:7], v[12:13], -v[28:29]
	v_add_u32_e32 v10, 0x1f8, v14
	ds_write2st64_b64 v10, v[8:9], v[6:7] offset0:7 offset1:15
.LBB29_6:
	s_or_b64 exec, exec, s[6:7]
	s_waitcnt lgkmcnt(0)
	s_barrier
	s_and_saveexec_b64 s[6:7], s[4:5]
	s_cbranch_execz .LBB29_8
; %bb.7:
	v_add_u32_e32 v10, -8, v14
	v_add_u32_e32 v6, 0x1f8, v14
	ds_read2st64_b64 v[6:9], v6 offset0:7 offset1:15
	ds_read_b64 v[10:11], v10
	ds_read_b64 v[12:13], v14 offset:16376
	s_waitcnt lgkmcnt(1)
	ds_write2st64_b64 v1, v[10:11], v[6:7] offset0:40 offset1:41
	s_waitcnt lgkmcnt(1)
	ds_write2st64_b64 v1, v[8:9], v[12:13] offset0:42 offset1:44
.LBB29_8:
	s_or_b64 exec, exec, s[6:7]
	v_or_b32_e32 v16, 0x5000, v1
	v_add_u32_e32 v18, 0x5400, v1
	v_add_u32_e32 v17, 0x5200, v1
	v_or_b32_e32 v15, 0x5800, v1
	s_waitcnt lgkmcnt(0)
	s_barrier
                                        ; implicit-def: $vgpr8_vgpr9
                                        ; implicit-def: $vgpr12_vgpr13
                                        ; implicit-def: $vgpr6_vgpr7
                                        ; implicit-def: $vgpr10_vgpr11
	s_and_saveexec_b64 s[6:7], s[4:5]
	s_cbranch_execz .LBB29_10
; %bb.9:
	v_sub_u32_e64 v6, v0, 1 clamp
	v_lshlrev_b32_e32 v38, 3, v6
	ds_read2st64_b64 v[10:13], v38 offset0:40 offset1:41
	ds_read_b64 v[20:21], v16
	ds_read_b64 v[28:29], v18
	;; [unrolled: 1-line block ×4, first 2 shown]
	v_min_u32_e32 v6, 63, v19
	s_waitcnt lgkmcnt(3)
	v_div_scale_f64 v[22:23], s[8:9], v[12:13], v[12:13], v[20:21]
	v_rcp_f64_e32 v[24:25], v[22:23]
	v_lshlrev_b32_e32 v19, 3, v6
	v_div_scale_f64 v[26:27], vcc, v[20:21], v[12:13], v[20:21]
	v_fma_f64 v[6:7], -v[22:23], v[24:25], 1.0
	v_fmac_f64_e32 v[24:25], v[24:25], v[6:7]
	v_fma_f64 v[6:7], -v[22:23], v[24:25], 1.0
	v_fmac_f64_e32 v[24:25], v[24:25], v[6:7]
	ds_read2st64_b64 v[6:9], v19 offset0:40 offset1:41
	v_mul_f64 v[34:35], v[26:27], v[24:25]
	v_fma_f64 v[22:23], -v[22:23], v[34:35], v[26:27]
	v_div_fmas_f64 v[22:23], v[22:23], v[24:25], v[34:35]
	v_div_fixup_f64 v[12:13], v[22:23], v[12:13], v[20:21]
	s_waitcnt lgkmcnt(0)
	v_div_scale_f64 v[26:27], s[8:9], v[8:9], v[8:9], v[28:29]
	v_rcp_f64_e32 v[36:37], v[26:27]
	v_mul_f64 v[10:11], v[12:13], -v[10:11]
	v_fma_f64 v[20:21], -v[26:27], v[36:37], 1.0
	v_fmac_f64_e32 v[36:37], v[36:37], v[20:21]
	v_fma_f64 v[20:21], -v[26:27], v[36:37], 1.0
	v_fmac_f64_e32 v[36:37], v[36:37], v[20:21]
	v_div_scale_f64 v[20:21], vcc, v[28:29], v[8:9], v[28:29]
	v_mul_f64 v[24:25], v[20:21], v[36:37]
	v_fma_f64 v[26:27], -v[26:27], v[24:25], v[20:21]
	ds_read2st64_b64 v[20:23], v38 offset0:42 offset1:44
	s_nop 0
	v_div_fmas_f64 v[34:35], v[26:27], v[36:37], v[24:25]
	ds_read2st64_b64 v[24:27], v19 offset0:42 offset1:44
	v_div_fixup_f64 v[28:29], v[34:35], v[8:9], v[28:29]
	s_waitcnt lgkmcnt(1)
	v_fma_f64 v[8:9], -v[12:13], v[20:21], v[30:31]
	v_fma_f64 v[6:7], -v[28:29], v[6:7], v[8:9]
	;; [unrolled: 1-line block ×3, first 2 shown]
	s_waitcnt lgkmcnt(0)
	v_fma_f64 v[8:9], -v[28:29], v[26:27], v[8:9]
	v_mul_f64 v[12:13], v[28:29], -v[24:25]
.LBB29_10:
	s_or_b64 exec, exec, s[6:7]
	s_barrier
	s_and_saveexec_b64 s[6:7], s[4:5]
	s_cbranch_execz .LBB29_12
; %bb.11:
	ds_write_b64 v17, v[6:7]
	ds_write_b64 v15, v[8:9]
	ds_write_b64 v16, v[10:11]
	ds_write_b64 v18, v[12:13]
.LBB29_12:
	s_or_b64 exec, exec, s[6:7]
	s_waitcnt lgkmcnt(0)
	s_barrier
	s_and_saveexec_b64 s[6:7], s[4:5]
	s_cbranch_execz .LBB29_14
; %bb.13:
	v_sub_u32_e64 v6, v0, 2 clamp
	v_lshlrev_b32_e32 v19, 3, v6
	ds_read2st64_b64 v[10:13], v19 offset0:40 offset1:41
	ds_read_b64 v[20:21], v16
	ds_read_b64 v[28:29], v18
	ds_read_b64 v[30:31], v17
	ds_read_b64 v[32:33], v15
	v_min_u32_e32 v6, 61, v0
	s_waitcnt lgkmcnt(3)
	v_div_scale_f64 v[22:23], s[8:9], v[12:13], v[12:13], v[20:21]
	v_rcp_f64_e32 v[24:25], v[22:23]
	v_lshlrev_b32_e32 v8, 3, v6
	v_add_u32_e32 v38, 16, v8
	v_div_scale_f64 v[26:27], vcc, v[20:21], v[12:13], v[20:21]
	v_fma_f64 v[6:7], -v[22:23], v[24:25], 1.0
	v_fmac_f64_e32 v[24:25], v[24:25], v[6:7]
	v_fma_f64 v[6:7], -v[22:23], v[24:25], 1.0
	v_fmac_f64_e32 v[24:25], v[24:25], v[6:7]
	ds_read2st64_b64 v[6:9], v38 offset0:40 offset1:41
	v_mul_f64 v[34:35], v[26:27], v[24:25]
	v_fma_f64 v[22:23], -v[22:23], v[34:35], v[26:27]
	v_div_fmas_f64 v[22:23], v[22:23], v[24:25], v[34:35]
	v_div_fixup_f64 v[12:13], v[22:23], v[12:13], v[20:21]
	s_waitcnt lgkmcnt(0)
	v_div_scale_f64 v[26:27], s[8:9], v[8:9], v[8:9], v[28:29]
	v_rcp_f64_e32 v[36:37], v[26:27]
	v_mul_f64 v[10:11], v[12:13], -v[10:11]
	v_fma_f64 v[20:21], -v[26:27], v[36:37], 1.0
	v_fmac_f64_e32 v[36:37], v[36:37], v[20:21]
	v_fma_f64 v[20:21], -v[26:27], v[36:37], 1.0
	v_fmac_f64_e32 v[36:37], v[36:37], v[20:21]
	v_div_scale_f64 v[20:21], vcc, v[28:29], v[8:9], v[28:29]
	v_mul_f64 v[24:25], v[20:21], v[36:37]
	v_fma_f64 v[26:27], -v[26:27], v[24:25], v[20:21]
	ds_read2st64_b64 v[20:23], v19 offset0:42 offset1:44
	s_nop 0
	v_div_fmas_f64 v[34:35], v[26:27], v[36:37], v[24:25]
	ds_read2st64_b64 v[24:27], v38 offset0:42 offset1:44
	v_div_fixup_f64 v[28:29], v[34:35], v[8:9], v[28:29]
	s_waitcnt lgkmcnt(1)
	v_fma_f64 v[8:9], -v[12:13], v[20:21], v[30:31]
	v_fma_f64 v[6:7], -v[28:29], v[6:7], v[8:9]
	v_fma_f64 v[8:9], -v[12:13], v[22:23], v[32:33]
	s_waitcnt lgkmcnt(0)
	v_fma_f64 v[8:9], -v[28:29], v[26:27], v[8:9]
	v_mul_f64 v[12:13], v[28:29], -v[24:25]
.LBB29_14:
	s_or_b64 exec, exec, s[6:7]
	s_barrier
	s_and_saveexec_b64 s[6:7], s[4:5]
	s_cbranch_execz .LBB29_16
; %bb.15:
	ds_write_b64 v17, v[6:7]
	ds_write_b64 v15, v[8:9]
	ds_write_b64 v16, v[10:11]
	ds_write_b64 v18, v[12:13]
.LBB29_16:
	s_or_b64 exec, exec, s[6:7]
	s_waitcnt lgkmcnt(0)
	s_barrier
	s_and_saveexec_b64 s[6:7], s[4:5]
	s_cbranch_execz .LBB29_18
; %bb.17:
	v_sub_u32_e64 v6, v0, 4 clamp
	v_lshlrev_b32_e32 v19, 3, v6
	ds_read2st64_b64 v[10:13], v19 offset0:40 offset1:41
	ds_read_b64 v[20:21], v16
	ds_read_b64 v[28:29], v18
	ds_read_b64 v[30:31], v17
	ds_read_b64 v[32:33], v15
	v_min_u32_e32 v6, 59, v0
	s_waitcnt lgkmcnt(3)
	v_div_scale_f64 v[22:23], s[8:9], v[12:13], v[12:13], v[20:21]
	v_rcp_f64_e32 v[24:25], v[22:23]
	v_lshlrev_b32_e32 v8, 3, v6
	v_add_u32_e32 v38, 32, v8
	v_div_scale_f64 v[26:27], vcc, v[20:21], v[12:13], v[20:21]
	v_fma_f64 v[6:7], -v[22:23], v[24:25], 1.0
	v_fmac_f64_e32 v[24:25], v[24:25], v[6:7]
	v_fma_f64 v[6:7], -v[22:23], v[24:25], 1.0
	v_fmac_f64_e32 v[24:25], v[24:25], v[6:7]
	ds_read2st64_b64 v[6:9], v38 offset0:40 offset1:41
	v_mul_f64 v[34:35], v[26:27], v[24:25]
	v_fma_f64 v[22:23], -v[22:23], v[34:35], v[26:27]
	v_div_fmas_f64 v[22:23], v[22:23], v[24:25], v[34:35]
	v_div_fixup_f64 v[12:13], v[22:23], v[12:13], v[20:21]
	s_waitcnt lgkmcnt(0)
	v_div_scale_f64 v[26:27], s[8:9], v[8:9], v[8:9], v[28:29]
	v_rcp_f64_e32 v[36:37], v[26:27]
	v_mul_f64 v[10:11], v[12:13], -v[10:11]
	v_fma_f64 v[20:21], -v[26:27], v[36:37], 1.0
	v_fmac_f64_e32 v[36:37], v[36:37], v[20:21]
	v_fma_f64 v[20:21], -v[26:27], v[36:37], 1.0
	v_fmac_f64_e32 v[36:37], v[36:37], v[20:21]
	v_div_scale_f64 v[20:21], vcc, v[28:29], v[8:9], v[28:29]
	v_mul_f64 v[24:25], v[20:21], v[36:37]
	v_fma_f64 v[26:27], -v[26:27], v[24:25], v[20:21]
	ds_read2st64_b64 v[20:23], v19 offset0:42 offset1:44
	s_nop 0
	v_div_fmas_f64 v[34:35], v[26:27], v[36:37], v[24:25]
	ds_read2st64_b64 v[24:27], v38 offset0:42 offset1:44
	v_div_fixup_f64 v[28:29], v[34:35], v[8:9], v[28:29]
	s_waitcnt lgkmcnt(1)
	v_fma_f64 v[8:9], -v[12:13], v[20:21], v[30:31]
	v_fma_f64 v[6:7], -v[28:29], v[6:7], v[8:9]
	v_fma_f64 v[8:9], -v[12:13], v[22:23], v[32:33]
	s_waitcnt lgkmcnt(0)
	v_fma_f64 v[8:9], -v[28:29], v[26:27], v[8:9]
	v_mul_f64 v[12:13], v[28:29], -v[24:25]
.LBB29_18:
	;; [unrolled: 63-line block ×4, first 2 shown]
	s_or_b64 exec, exec, s[6:7]
	s_barrier
	s_and_saveexec_b64 s[6:7], s[4:5]
	s_cbranch_execz .LBB29_28
; %bb.27:
	ds_write_b64 v17, v[6:7]
	ds_write_b64 v15, v[8:9]
	;; [unrolled: 1-line block ×4, first 2 shown]
.LBB29_28:
	s_or_b64 exec, exec, s[6:7]
	v_cmp_gt_u32_e32 vcc, 32, v0
	s_waitcnt lgkmcnt(0)
	s_barrier
	s_and_saveexec_b64 s[6:7], vcc
	s_cbranch_execz .LBB29_30
; %bb.29:
	ds_read_b64 v[18:19], v18
	ds_read_b64 v[20:21], v16 offset:256
	ds_read2_b64 v[6:9], v17 offset1:32
	s_waitcnt lgkmcnt(1)
	v_mul_f64 v[10:11], v[18:19], v[20:21]
	s_waitcnt lgkmcnt(0)
	v_fma_f64 v[16:17], v[8:9], v[6:7], -v[10:11]
	v_div_scale_f64 v[22:23], s[8:9], v[16:17], v[16:17], 1.0
	v_rcp_f64_e32 v[24:25], v[22:23]
	ds_read2_b64 v[10:13], v15 offset1:32
	v_div_scale_f64 v[26:27], vcc, 1.0, v[16:17], 1.0
	v_fma_f64 v[28:29], -v[22:23], v[24:25], 1.0
	v_fmac_f64_e32 v[24:25], v[24:25], v[28:29]
	v_fma_f64 v[28:29], -v[22:23], v[24:25], 1.0
	v_fmac_f64_e32 v[24:25], v[24:25], v[28:29]
	v_mul_f64 v[28:29], v[26:27], v[24:25]
	v_fma_f64 v[22:23], -v[22:23], v[28:29], v[26:27]
	s_waitcnt lgkmcnt(0)
	v_mul_f64 v[18:19], v[18:19], v[12:13]
	v_div_fmas_f64 v[22:23], v[22:23], v[24:25], v[28:29]
	v_fma_f64 v[8:9], v[8:9], v[10:11], -v[18:19]
	v_mul_f64 v[10:11], v[20:21], v[10:11]
	v_div_fixup_f64 v[16:17], v[22:23], v[16:17], 1.0
	v_fma_f64 v[6:7], v[6:7], v[12:13], -v[10:11]
	v_mul_f64 v[8:9], v[16:17], v[8:9]
	v_mul_f64 v[6:7], v[16:17], v[6:7]
	v_add_u32_e32 v10, 0x5000, v1
	ds_write2_b64 v10, v[8:9], v[6:7] offset0:192 offset1:224
.LBB29_30:
	s_or_b64 exec, exec, s[6:7]
	s_waitcnt lgkmcnt(0)
	s_barrier
	s_and_saveexec_b64 s[6:7], s[4:5]
	s_cbranch_execz .LBB29_32
; %bb.31:
	ds_read_b64 v[6:7], v1 offset:22016
	s_waitcnt lgkmcnt(0)
	ds_write_b64 v14, v[6:7] offset:12280
.LBB29_32:
	s_or_b64 exec, exec, s[6:7]
	s_waitcnt lgkmcnt(0)
	s_barrier
	s_and_saveexec_b64 s[6:7], s[4:5]
	s_cbranch_execz .LBB29_36
; %bb.33:
	v_lshlrev_b32_e32 v6, 6, v0
	ds_read_b64 v[6:7], v6 offset:16408
	v_cmp_ne_u32_e32 vcc, 0, v0
	v_lshlrev_b32_e32 v8, 3, v1
	s_and_saveexec_b64 s[4:5], vcc
	s_cbranch_execz .LBB29_35
; %bb.34:
	ds_read_b64 v[10:11], v8 offset:24
	ds_read_b64 v[12:13], v8 offset:12280
	s_waitcnt lgkmcnt(0)
	v_fma_f64 v[6:7], -v[10:11], v[12:13], v[6:7]
.LBB29_35:
	s_or_b64 exec, exec, s[4:5]
	v_add_u32_e32 v9, 24, v8
	ds_read_b64 v[14:15], v8 offset:12344
	ds_read2st64_b64 v[10:13], v9 offset0:8 offset1:16
	s_waitcnt lgkmcnt(0)
	v_fma_f64 v[6:7], -v[12:13], v[14:15], v[6:7]
	v_div_scale_f64 v[12:13], s[4:5], v[10:11], v[10:11], v[6:7]
	v_rcp_f64_e32 v[14:15], v[12:13]
	v_div_scale_f64 v[16:17], vcc, v[6:7], v[10:11], v[6:7]
	v_fma_f64 v[18:19], -v[12:13], v[14:15], 1.0
	v_fmac_f64_e32 v[14:15], v[14:15], v[18:19]
	v_fma_f64 v[18:19], -v[12:13], v[14:15], 1.0
	v_fmac_f64_e32 v[14:15], v[14:15], v[18:19]
	v_mul_f64 v[18:19], v[16:17], v[14:15]
	v_fma_f64 v[12:13], -v[12:13], v[18:19], v[16:17]
	v_div_fmas_f64 v[12:13], v[12:13], v[14:15], v[18:19]
	v_div_fixup_f64 v[6:7], v[12:13], v[10:11], v[6:7]
	ds_write_b64 v8, v[6:7] offset:12312
.LBB29_36:
	s_or_b64 exec, exec, s[6:7]
	s_waitcnt lgkmcnt(0)
	s_barrier
	s_and_saveexec_b64 s[4:5], s[2:3]
	s_cbranch_execz .LBB29_40
; %bb.37:
	v_lshlrev_b32_e32 v6, 5, v0
	ds_read_b64 v[6:7], v6 offset:16392
	v_lshlrev_b32_e32 v8, 2, v0
	v_cmp_ne_u32_e32 vcc, 0, v0
	v_lshlrev_b32_e32 v8, 3, v8
	s_and_saveexec_b64 s[2:3], vcc
	s_cbranch_execz .LBB29_39
; %bb.38:
	ds_read_b64 v[10:11], v8 offset:8
	ds_read_b64 v[12:13], v8 offset:12280
	s_waitcnt lgkmcnt(0)
	v_fma_f64 v[6:7], -v[10:11], v[12:13], v[6:7]
.LBB29_39:
	s_or_b64 exec, exec, s[2:3]
	v_add_u32_e32 v9, 8, v8
	ds_read_b64 v[14:15], v8 offset:12312
	ds_read2st64_b64 v[10:13], v9 offset0:8 offset1:16
	s_waitcnt lgkmcnt(0)
	v_fma_f64 v[6:7], -v[12:13], v[14:15], v[6:7]
	v_div_scale_f64 v[12:13], s[2:3], v[10:11], v[10:11], v[6:7]
	v_rcp_f64_e32 v[14:15], v[12:13]
	v_div_scale_f64 v[16:17], vcc, v[6:7], v[10:11], v[6:7]
	v_fma_f64 v[18:19], -v[12:13], v[14:15], 1.0
	v_fmac_f64_e32 v[14:15], v[14:15], v[18:19]
	v_fma_f64 v[18:19], -v[12:13], v[14:15], 1.0
	v_fmac_f64_e32 v[14:15], v[14:15], v[18:19]
	v_mul_f64 v[18:19], v[16:17], v[14:15]
	v_fma_f64 v[12:13], -v[12:13], v[18:19], v[16:17]
	v_div_fmas_f64 v[12:13], v[12:13], v[14:15], v[18:19]
	v_div_fixup_f64 v[6:7], v[12:13], v[10:11], v[6:7]
	ds_write_b64 v8, v[6:7] offset:12296
.LBB29_40:
	s_or_b64 exec, exec, s[4:5]
	s_waitcnt lgkmcnt(0)
	s_barrier
	s_and_saveexec_b64 s[2:3], s[0:1]
	s_cbranch_execz .LBB29_44
; %bb.41:
	v_lshlrev_b32_e32 v6, 4, v0
	ds_read_b64 v[6:7], v6 offset:16384
	v_lshlrev_b32_e32 v8, 1, v0
	v_cmp_ne_u32_e32 vcc, 0, v0
	v_lshlrev_b32_e32 v0, 3, v8
	s_and_saveexec_b64 s[0:1], vcc
	s_cbranch_execz .LBB29_43
; %bb.42:
	ds_read_b64 v[8:9], v0
	ds_read_b64 v[10:11], v0 offset:12280
	s_waitcnt lgkmcnt(0)
	v_fma_f64 v[6:7], -v[8:9], v[10:11], v[6:7]
.LBB29_43:
	s_or_b64 exec, exec, s[0:1]
	ds_read2st64_b64 v[8:11], v0 offset0:8 offset1:16
	ds_read_b64 v[12:13], v0 offset:12296
	s_waitcnt lgkmcnt(0)
	v_fma_f64 v[6:7], -v[10:11], v[12:13], v[6:7]
	v_div_scale_f64 v[10:11], s[0:1], v[8:9], v[8:9], v[6:7]
	v_rcp_f64_e32 v[12:13], v[10:11]
	v_div_scale_f64 v[14:15], vcc, v[6:7], v[8:9], v[6:7]
	v_fma_f64 v[16:17], -v[10:11], v[12:13], 1.0
	v_fmac_f64_e32 v[12:13], v[12:13], v[16:17]
	v_fma_f64 v[16:17], -v[10:11], v[12:13], 1.0
	v_fmac_f64_e32 v[12:13], v[12:13], v[16:17]
	v_mul_f64 v[16:17], v[14:15], v[12:13]
	v_fma_f64 v[10:11], -v[10:11], v[16:17], v[14:15]
	v_div_fmas_f64 v[10:11], v[10:11], v[12:13], v[16:17]
	v_div_fixup_f64 v[6:7], v[10:11], v[8:9], v[6:7]
	ds_write_b64 v0, v[6:7] offset:12288
.LBB29_44:
	s_or_b64 exec, exec, s[2:3]
	s_waitcnt lgkmcnt(0)
	s_barrier
	ds_read2st64_b64 v[6:9], v1 offset0:24 offset1:28
	s_waitcnt lgkmcnt(0)
	global_store_dwordx2 v[2:3], v[6:7], off
	global_store_dwordx2 v[4:5], v[8:9], off
	s_endpgm
	.section	.rodata,"a",@progbits
	.p2align	6, 0x0
	.amdhsa_kernel _ZN9rocsparseL51gtsv_nopivot_strided_batch_crpcr_pow2_shared_kernelILj256ELj64EdEEviiiPKT1_S3_S3_PS1_
		.amdhsa_group_segment_fixed_size 23040
		.amdhsa_private_segment_fixed_size 0
		.amdhsa_kernarg_size 48
		.amdhsa_user_sgpr_count 2
		.amdhsa_user_sgpr_dispatch_ptr 0
		.amdhsa_user_sgpr_queue_ptr 0
		.amdhsa_user_sgpr_kernarg_segment_ptr 1
		.amdhsa_user_sgpr_dispatch_id 0
		.amdhsa_user_sgpr_kernarg_preload_length 0
		.amdhsa_user_sgpr_kernarg_preload_offset 0
		.amdhsa_user_sgpr_private_segment_size 0
		.amdhsa_uses_dynamic_stack 0
		.amdhsa_enable_private_segment 0
		.amdhsa_system_sgpr_workgroup_id_x 1
		.amdhsa_system_sgpr_workgroup_id_y 0
		.amdhsa_system_sgpr_workgroup_id_z 0
		.amdhsa_system_sgpr_workgroup_info 0
		.amdhsa_system_vgpr_workitem_id 0
		.amdhsa_next_free_vgpr 65
		.amdhsa_next_free_sgpr 75
		.amdhsa_accum_offset 40
		.amdhsa_reserve_vcc 1
		.amdhsa_float_round_mode_32 0
		.amdhsa_float_round_mode_16_64 0
		.amdhsa_float_denorm_mode_32 3
		.amdhsa_float_denorm_mode_16_64 3
		.amdhsa_dx10_clamp 1
		.amdhsa_ieee_mode 1
		.amdhsa_fp16_overflow 0
		.amdhsa_tg_split 0
		.amdhsa_exception_fp_ieee_invalid_op 0
		.amdhsa_exception_fp_denorm_src 0
		.amdhsa_exception_fp_ieee_div_zero 0
		.amdhsa_exception_fp_ieee_overflow 0
		.amdhsa_exception_fp_ieee_underflow 0
		.amdhsa_exception_fp_ieee_inexact 0
		.amdhsa_exception_int_div_zero 0
	.end_amdhsa_kernel
	.section	.text._ZN9rocsparseL51gtsv_nopivot_strided_batch_crpcr_pow2_shared_kernelILj256ELj64EdEEviiiPKT1_S3_S3_PS1_,"axG",@progbits,_ZN9rocsparseL51gtsv_nopivot_strided_batch_crpcr_pow2_shared_kernelILj256ELj64EdEEviiiPKT1_S3_S3_PS1_,comdat
.Lfunc_end29:
	.size	_ZN9rocsparseL51gtsv_nopivot_strided_batch_crpcr_pow2_shared_kernelILj256ELj64EdEEviiiPKT1_S3_S3_PS1_, .Lfunc_end29-_ZN9rocsparseL51gtsv_nopivot_strided_batch_crpcr_pow2_shared_kernelILj256ELj64EdEEviiiPKT1_S3_S3_PS1_
                                        ; -- End function
	.set _ZN9rocsparseL51gtsv_nopivot_strided_batch_crpcr_pow2_shared_kernelILj256ELj64EdEEviiiPKT1_S3_S3_PS1_.num_vgpr, 40
	.set _ZN9rocsparseL51gtsv_nopivot_strided_batch_crpcr_pow2_shared_kernelILj256ELj64EdEEviiiPKT1_S3_S3_PS1_.num_agpr, 0
	.set _ZN9rocsparseL51gtsv_nopivot_strided_batch_crpcr_pow2_shared_kernelILj256ELj64EdEEviiiPKT1_S3_S3_PS1_.numbered_sgpr, 12
	.set _ZN9rocsparseL51gtsv_nopivot_strided_batch_crpcr_pow2_shared_kernelILj256ELj64EdEEviiiPKT1_S3_S3_PS1_.num_named_barrier, 0
	.set _ZN9rocsparseL51gtsv_nopivot_strided_batch_crpcr_pow2_shared_kernelILj256ELj64EdEEviiiPKT1_S3_S3_PS1_.private_seg_size, 0
	.set _ZN9rocsparseL51gtsv_nopivot_strided_batch_crpcr_pow2_shared_kernelILj256ELj64EdEEviiiPKT1_S3_S3_PS1_.uses_vcc, 1
	.set _ZN9rocsparseL51gtsv_nopivot_strided_batch_crpcr_pow2_shared_kernelILj256ELj64EdEEviiiPKT1_S3_S3_PS1_.uses_flat_scratch, 0
	.set _ZN9rocsparseL51gtsv_nopivot_strided_batch_crpcr_pow2_shared_kernelILj256ELj64EdEEviiiPKT1_S3_S3_PS1_.has_dyn_sized_stack, 0
	.set _ZN9rocsparseL51gtsv_nopivot_strided_batch_crpcr_pow2_shared_kernelILj256ELj64EdEEviiiPKT1_S3_S3_PS1_.has_recursion, 0
	.set _ZN9rocsparseL51gtsv_nopivot_strided_batch_crpcr_pow2_shared_kernelILj256ELj64EdEEviiiPKT1_S3_S3_PS1_.has_indirect_call, 0
	.section	.AMDGPU.csdata,"",@progbits
; Kernel info:
; codeLenInByte = 4276
; TotalNumSgprs: 18
; NumVgprs: 40
; NumAgprs: 0
; TotalNumVgprs: 40
; ScratchSize: 0
; MemoryBound: 0
; FloatMode: 240
; IeeeMode: 1
; LDSByteSize: 23040 bytes/workgroup (compile time only)
; SGPRBlocks: 10
; VGPRBlocks: 8
; NumSGPRsForWavesPerEU: 81
; NumVGPRsForWavesPerEU: 65
; AccumOffset: 40
; Occupancy: 7
; WaveLimiterHint : 0
; COMPUTE_PGM_RSRC2:SCRATCH_EN: 0
; COMPUTE_PGM_RSRC2:USER_SGPR: 2
; COMPUTE_PGM_RSRC2:TRAP_HANDLER: 0
; COMPUTE_PGM_RSRC2:TGID_X_EN: 1
; COMPUTE_PGM_RSRC2:TGID_Y_EN: 0
; COMPUTE_PGM_RSRC2:TGID_Z_EN: 0
; COMPUTE_PGM_RSRC2:TIDIG_COMP_CNT: 0
; COMPUTE_PGM_RSRC3_GFX90A:ACCUM_OFFSET: 9
; COMPUTE_PGM_RSRC3_GFX90A:TG_SPLIT: 0
	.section	.text._ZN9rocsparseL44gtsv_nopivot_strided_batch_pcr_shared_kernelILj4EdEEviiiPKT0_S3_S3_PS1_,"axG",@progbits,_ZN9rocsparseL44gtsv_nopivot_strided_batch_pcr_shared_kernelILj4EdEEviiiPKT0_S3_S3_PS1_,comdat
	.globl	_ZN9rocsparseL44gtsv_nopivot_strided_batch_pcr_shared_kernelILj4EdEEviiiPKT0_S3_S3_PS1_ ; -- Begin function _ZN9rocsparseL44gtsv_nopivot_strided_batch_pcr_shared_kernelILj4EdEEviiiPKT0_S3_S3_PS1_
	.p2align	8
	.type	_ZN9rocsparseL44gtsv_nopivot_strided_batch_pcr_shared_kernelILj4EdEEviiiPKT0_S3_S3_PS1_,@function
_ZN9rocsparseL44gtsv_nopivot_strided_batch_pcr_shared_kernelILj4EdEEviiiPKT0_S3_S3_PS1_: ; @_ZN9rocsparseL44gtsv_nopivot_strided_batch_pcr_shared_kernelILj4EdEEviiiPKT0_S3_S3_PS1_
; %bb.0:
	s_load_dword s3, s[0:1], 0x8
	s_load_dword s8, s[0:1], 0x0
	v_mov_b64_e32 v[4:5], 0
	v_mov_b64_e32 v[6:7], 0
	s_waitcnt lgkmcnt(0)
	s_mul_i32 s4, s3, s2
	v_add_u32_e32 v2, s4, v0
	v_cmp_gt_i32_e64 s[2:3], s8, v0
	v_ashrrev_i32_e32 v3, 31, v2
	s_and_saveexec_b64 s[4:5], s[2:3]
	s_cbranch_execz .LBB30_2
; %bb.1:
	s_load_dwordx2 s[6:7], s[0:1], 0x10
	s_waitcnt lgkmcnt(0)
	v_lshl_add_u64 v[6:7], v[2:3], 3, s[6:7]
	global_load_dwordx2 v[6:7], v[6:7], off
.LBB30_2:
	s_or_b64 exec, exec, s[4:5]
	v_lshlrev_b32_e32 v1, 3, v0
	s_waitcnt vmcnt(0)
	ds_write_b64 v1, v[6:7]
	s_and_saveexec_b64 s[4:5], s[2:3]
	s_cbranch_execz .LBB30_4
; %bb.3:
	s_load_dwordx2 s[6:7], s[0:1], 0x18
	s_waitcnt lgkmcnt(0)
	v_lshl_add_u64 v[4:5], v[2:3], 3, s[6:7]
	global_load_dwordx2 v[4:5], v[4:5], off
.LBB30_4:
	s_or_b64 exec, exec, s[4:5]
	s_load_dwordx2 s[4:5], s[0:1], 0x28
	s_waitcnt vmcnt(0)
	ds_write_b64 v1, v[4:5] offset:32
	v_mov_b64_e32 v[4:5], 0
	v_mov_b64_e32 v[8:9], 0
	s_and_saveexec_b64 s[6:7], s[2:3]
	s_cbranch_execz .LBB30_6
; %bb.5:
	s_load_dwordx2 s[0:1], s[0:1], 0x20
	s_waitcnt lgkmcnt(0)
	v_lshl_add_u64 v[6:7], v[2:3], 3, s[0:1]
	global_load_dwordx2 v[8:9], v[6:7], off
.LBB30_6:
	s_or_b64 exec, exec, s[6:7]
	v_or_b32_e32 v6, 32, v1
	v_or_b32_e32 v7, 64, v1
	s_waitcnt vmcnt(0)
	ds_write_b64 v1, v[8:9] offset:64
	s_and_saveexec_b64 s[0:1], s[2:3]
	s_cbranch_execz .LBB30_8
; %bb.7:
	s_waitcnt lgkmcnt(0)
	v_lshl_add_u64 v[4:5], v[2:3], 3, s[4:5]
	global_load_dwordx2 v[4:5], v[4:5], off
.LBB30_8:
	s_or_b64 exec, exec, s[0:1]
	s_waitcnt vmcnt(0)
	ds_write_b64 v1, v[4:5] offset:128
	v_sub_u32_e64 v4, v0, 1 clamp
	v_lshlrev_b32_e32 v32, 3, v4
	s_waitcnt lgkmcnt(0)
	; wave barrier
	ds_read2_b64 v[8:11], v32 offset1:4
	ds_read_b64 v[4:5], v1
	ds_read_b64 v[24:25], v7
	;; [unrolled: 1-line block ×3, first 2 shown]
	ds_read_b64 v[28:29], v1 offset:128
	v_add_u32_e32 v12, 1, v0
	s_waitcnt lgkmcnt(3)
	v_div_scale_f64 v[16:17], s[0:1], v[10:11], v[10:11], v[4:5]
	v_rcp_f64_e32 v[18:19], v[16:17]
	s_add_i32 s0, s8, -1
	v_min_i32_e32 v14, s0, v12
	v_lshlrev_b32_e32 v33, 3, v14
	v_fma_f64 v[12:13], -v[16:17], v[18:19], 1.0
	v_fmac_f64_e32 v[18:19], v[18:19], v[12:13]
	v_fma_f64 v[12:13], -v[16:17], v[18:19], 1.0
	v_fmac_f64_e32 v[18:19], v[18:19], v[12:13]
	ds_read2_b64 v[12:15], v33 offset1:4
	v_div_scale_f64 v[20:21], vcc, v[4:5], v[10:11], v[4:5]
	v_mul_f64 v[22:23], v[20:21], v[18:19]
	v_fma_f64 v[16:17], -v[16:17], v[22:23], v[20:21]
	s_waitcnt lgkmcnt(0)
	v_div_scale_f64 v[20:21], s[0:1], v[14:15], v[14:15], v[24:25]
	v_rcp_f64_e32 v[30:31], v[20:21]
	v_div_fmas_f64 v[16:17], v[16:17], v[18:19], v[22:23]
	v_div_fixup_f64 v[4:5], v[16:17], v[10:11], v[4:5]
	ds_read2_b64 v[16:19], v32 offset0:8 offset1:16
	v_fma_f64 v[10:11], -v[20:21], v[30:31], 1.0
	v_fmac_f64_e32 v[30:31], v[30:31], v[10:11]
	v_fma_f64 v[10:11], -v[20:21], v[30:31], 1.0
	v_fmac_f64_e32 v[30:31], v[30:31], v[10:11]
	v_div_scale_f64 v[10:11], vcc, v[24:25], v[14:15], v[24:25]
	v_mul_f64 v[22:23], v[10:11], v[30:31]
	v_fma_f64 v[10:11], -v[20:21], v[22:23], v[10:11]
	s_nop 1
	v_div_fmas_f64 v[10:11], v[10:11], v[30:31], v[22:23]
	ds_read2_b64 v[20:23], v33 offset0:8 offset1:16
	v_div_fixup_f64 v[10:11], v[10:11], v[14:15], v[24:25]
	s_waitcnt lgkmcnt(1)
	v_fma_f64 v[14:15], -v[4:5], v[16:17], v[26:27]
	v_fma_f64 v[12:13], -v[10:11], v[12:13], v[14:15]
	;; [unrolled: 1-line block ×3, first 2 shown]
	v_cmp_gt_u32_e32 vcc, 2, v0
	s_waitcnt lgkmcnt(0)
	v_fma_f64 v[14:15], -v[10:11], v[22:23], v[14:15]
	v_mul_f64 v[4:5], v[4:5], -v[8:9]
	v_mul_f64 v[8:9], v[10:11], -v[20:21]
	; wave barrier
	ds_write_b64 v6, v[12:13]
	ds_write_b64 v1, v[14:15] offset:128
	ds_write_b64 v1, v[4:5]
	ds_write_b64 v7, v[8:9]
	s_waitcnt lgkmcnt(0)
	; wave barrier
	s_and_saveexec_b64 s[0:1], vcc
	s_cbranch_execz .LBB30_14
; %bb.9:
	v_or_b32_e32 v8, 2, v0
	v_or_b32_e32 v9, 0x80, v1
	v_cmp_le_i32_e32 vcc, s8, v8
                                        ; implicit-def: $vgpr4_vgpr5
	s_and_saveexec_b64 s[6:7], vcc
	s_xor_b64 s[6:7], exec, s[6:7]
	s_cbranch_execz .LBB30_11
; %bb.10:
	ds_read_b64 v[4:5], v9
	ds_read_b64 v[6:7], v6
	s_waitcnt lgkmcnt(0)
	v_div_scale_f64 v[8:9], s[8:9], v[6:7], v[6:7], v[4:5]
	v_rcp_f64_e32 v[10:11], v[8:9]
	v_div_scale_f64 v[12:13], vcc, v[4:5], v[6:7], v[4:5]
	v_fma_f64 v[14:15], -v[8:9], v[10:11], 1.0
	v_fmac_f64_e32 v[10:11], v[10:11], v[14:15]
	v_fma_f64 v[14:15], -v[8:9], v[10:11], 1.0
	v_fmac_f64_e32 v[10:11], v[10:11], v[14:15]
	v_mul_f64 v[14:15], v[12:13], v[10:11]
	v_fma_f64 v[8:9], -v[8:9], v[14:15], v[12:13]
	v_div_fmas_f64 v[8:9], v[8:9], v[10:11], v[14:15]
	v_div_fixup_f64 v[4:5], v[8:9], v[6:7], v[4:5]
                                        ; implicit-def: $vgpr6
                                        ; implicit-def: $vgpr7
                                        ; implicit-def: $vgpr9
                                        ; implicit-def: $vgpr8
.LBB30_11:
	s_andn2_saveexec_b64 s[6:7], s[6:7]
	s_cbranch_execz .LBB30_13
; %bb.12:
	ds_read_b64 v[14:15], v7
	ds_read_b64 v[16:17], v1 offset:16
	ds_read2_b64 v[4:7], v6 offset1:2
	v_mov_b32_e32 v0, v8
	s_waitcnt lgkmcnt(1)
	v_mul_f64 v[10:11], v[14:15], v[16:17]
	s_waitcnt lgkmcnt(0)
	v_fma_f64 v[18:19], v[6:7], v[4:5], -v[10:11]
	v_div_scale_f64 v[20:21], s[8:9], v[18:19], v[18:19], 1.0
	v_rcp_f64_e32 v[22:23], v[20:21]
	ds_read2_b64 v[10:13], v9 offset1:2
	v_div_scale_f64 v[24:25], vcc, 1.0, v[18:19], 1.0
	v_fma_f64 v[26:27], -v[20:21], v[22:23], 1.0
	v_fmac_f64_e32 v[22:23], v[22:23], v[26:27]
	v_fma_f64 v[26:27], -v[20:21], v[22:23], 1.0
	v_fmac_f64_e32 v[22:23], v[22:23], v[26:27]
	v_mul_f64 v[26:27], v[24:25], v[22:23]
	v_fma_f64 v[20:21], -v[20:21], v[26:27], v[24:25]
	v_div_fmas_f64 v[20:21], v[20:21], v[22:23], v[26:27]
	s_waitcnt lgkmcnt(0)
	v_mul_f64 v[14:15], v[14:15], v[12:13]
	v_div_fixup_f64 v[18:19], v[20:21], v[18:19], 1.0
	v_fma_f64 v[6:7], v[6:7], v[10:11], -v[14:15]
	v_mul_f64 v[6:7], v[18:19], v[6:7]
	ds_write_b64 v1, v[6:7] offset:96
	v_mul_f64 v[6:7], v[16:17], v[10:11]
	v_fma_f64 v[4:5], v[4:5], v[12:13], -v[6:7]
	v_mul_f64 v[4:5], v[18:19], v[4:5]
.LBB30_13:
	s_or_b64 exec, exec, s[6:7]
	v_lshlrev_b32_e32 v0, 3, v0
	ds_write_b64 v0, v[4:5] offset:96
.LBB30_14:
	s_or_b64 exec, exec, s[0:1]
	s_waitcnt lgkmcnt(0)
	; wave barrier
	s_and_saveexec_b64 s[0:1], s[2:3]
	s_cbranch_execz .LBB30_16
; %bb.15:
	ds_read_b64 v[0:1], v1 offset:96
	v_lshl_add_u64 v[2:3], v[2:3], 3, s[4:5]
	s_waitcnt lgkmcnt(0)
	global_store_dwordx2 v[2:3], v[0:1], off
.LBB30_16:
	s_endpgm
	.section	.rodata,"a",@progbits
	.p2align	6, 0x0
	.amdhsa_kernel _ZN9rocsparseL44gtsv_nopivot_strided_batch_pcr_shared_kernelILj4EdEEviiiPKT0_S3_S3_PS1_
		.amdhsa_group_segment_fixed_size 160
		.amdhsa_private_segment_fixed_size 0
		.amdhsa_kernarg_size 48
		.amdhsa_user_sgpr_count 2
		.amdhsa_user_sgpr_dispatch_ptr 0
		.amdhsa_user_sgpr_queue_ptr 0
		.amdhsa_user_sgpr_kernarg_segment_ptr 1
		.amdhsa_user_sgpr_dispatch_id 0
		.amdhsa_user_sgpr_kernarg_preload_length 0
		.amdhsa_user_sgpr_kernarg_preload_offset 0
		.amdhsa_user_sgpr_private_segment_size 0
		.amdhsa_uses_dynamic_stack 0
		.amdhsa_enable_private_segment 0
		.amdhsa_system_sgpr_workgroup_id_x 1
		.amdhsa_system_sgpr_workgroup_id_y 0
		.amdhsa_system_sgpr_workgroup_id_z 0
		.amdhsa_system_sgpr_workgroup_info 0
		.amdhsa_system_vgpr_workitem_id 0
		.amdhsa_next_free_vgpr 34
		.amdhsa_next_free_sgpr 10
		.amdhsa_accum_offset 36
		.amdhsa_reserve_vcc 1
		.amdhsa_float_round_mode_32 0
		.amdhsa_float_round_mode_16_64 0
		.amdhsa_float_denorm_mode_32 3
		.amdhsa_float_denorm_mode_16_64 3
		.amdhsa_dx10_clamp 1
		.amdhsa_ieee_mode 1
		.amdhsa_fp16_overflow 0
		.amdhsa_tg_split 0
		.amdhsa_exception_fp_ieee_invalid_op 0
		.amdhsa_exception_fp_denorm_src 0
		.amdhsa_exception_fp_ieee_div_zero 0
		.amdhsa_exception_fp_ieee_overflow 0
		.amdhsa_exception_fp_ieee_underflow 0
		.amdhsa_exception_fp_ieee_inexact 0
		.amdhsa_exception_int_div_zero 0
	.end_amdhsa_kernel
	.section	.text._ZN9rocsparseL44gtsv_nopivot_strided_batch_pcr_shared_kernelILj4EdEEviiiPKT0_S3_S3_PS1_,"axG",@progbits,_ZN9rocsparseL44gtsv_nopivot_strided_batch_pcr_shared_kernelILj4EdEEviiiPKT0_S3_S3_PS1_,comdat
.Lfunc_end30:
	.size	_ZN9rocsparseL44gtsv_nopivot_strided_batch_pcr_shared_kernelILj4EdEEviiiPKT0_S3_S3_PS1_, .Lfunc_end30-_ZN9rocsparseL44gtsv_nopivot_strided_batch_pcr_shared_kernelILj4EdEEviiiPKT0_S3_S3_PS1_
                                        ; -- End function
	.set _ZN9rocsparseL44gtsv_nopivot_strided_batch_pcr_shared_kernelILj4EdEEviiiPKT0_S3_S3_PS1_.num_vgpr, 34
	.set _ZN9rocsparseL44gtsv_nopivot_strided_batch_pcr_shared_kernelILj4EdEEviiiPKT0_S3_S3_PS1_.num_agpr, 0
	.set _ZN9rocsparseL44gtsv_nopivot_strided_batch_pcr_shared_kernelILj4EdEEviiiPKT0_S3_S3_PS1_.numbered_sgpr, 10
	.set _ZN9rocsparseL44gtsv_nopivot_strided_batch_pcr_shared_kernelILj4EdEEviiiPKT0_S3_S3_PS1_.num_named_barrier, 0
	.set _ZN9rocsparseL44gtsv_nopivot_strided_batch_pcr_shared_kernelILj4EdEEviiiPKT0_S3_S3_PS1_.private_seg_size, 0
	.set _ZN9rocsparseL44gtsv_nopivot_strided_batch_pcr_shared_kernelILj4EdEEviiiPKT0_S3_S3_PS1_.uses_vcc, 1
	.set _ZN9rocsparseL44gtsv_nopivot_strided_batch_pcr_shared_kernelILj4EdEEviiiPKT0_S3_S3_PS1_.uses_flat_scratch, 0
	.set _ZN9rocsparseL44gtsv_nopivot_strided_batch_pcr_shared_kernelILj4EdEEviiiPKT0_S3_S3_PS1_.has_dyn_sized_stack, 0
	.set _ZN9rocsparseL44gtsv_nopivot_strided_batch_pcr_shared_kernelILj4EdEEviiiPKT0_S3_S3_PS1_.has_recursion, 0
	.set _ZN9rocsparseL44gtsv_nopivot_strided_batch_pcr_shared_kernelILj4EdEEviiiPKT0_S3_S3_PS1_.has_indirect_call, 0
	.section	.AMDGPU.csdata,"",@progbits
; Kernel info:
; codeLenInByte = 1032
; TotalNumSgprs: 16
; NumVgprs: 34
; NumAgprs: 0
; TotalNumVgprs: 34
; ScratchSize: 0
; MemoryBound: 0
; FloatMode: 240
; IeeeMode: 1
; LDSByteSize: 160 bytes/workgroup (compile time only)
; SGPRBlocks: 1
; VGPRBlocks: 4
; NumSGPRsForWavesPerEU: 16
; NumVGPRsForWavesPerEU: 34
; AccumOffset: 36
; Occupancy: 8
; WaveLimiterHint : 0
; COMPUTE_PGM_RSRC2:SCRATCH_EN: 0
; COMPUTE_PGM_RSRC2:USER_SGPR: 2
; COMPUTE_PGM_RSRC2:TRAP_HANDLER: 0
; COMPUTE_PGM_RSRC2:TGID_X_EN: 1
; COMPUTE_PGM_RSRC2:TGID_Y_EN: 0
; COMPUTE_PGM_RSRC2:TGID_Z_EN: 0
; COMPUTE_PGM_RSRC2:TIDIG_COMP_CNT: 0
; COMPUTE_PGM_RSRC3_GFX90A:ACCUM_OFFSET: 8
; COMPUTE_PGM_RSRC3_GFX90A:TG_SPLIT: 0
	.section	.text._ZN9rocsparseL44gtsv_nopivot_strided_batch_pcr_shared_kernelILj8EdEEviiiPKT0_S3_S3_PS1_,"axG",@progbits,_ZN9rocsparseL44gtsv_nopivot_strided_batch_pcr_shared_kernelILj8EdEEviiiPKT0_S3_S3_PS1_,comdat
	.globl	_ZN9rocsparseL44gtsv_nopivot_strided_batch_pcr_shared_kernelILj8EdEEviiiPKT0_S3_S3_PS1_ ; -- Begin function _ZN9rocsparseL44gtsv_nopivot_strided_batch_pcr_shared_kernelILj8EdEEviiiPKT0_S3_S3_PS1_
	.p2align	8
	.type	_ZN9rocsparseL44gtsv_nopivot_strided_batch_pcr_shared_kernelILj8EdEEviiiPKT0_S3_S3_PS1_,@function
_ZN9rocsparseL44gtsv_nopivot_strided_batch_pcr_shared_kernelILj8EdEEviiiPKT0_S3_S3_PS1_: ; @_ZN9rocsparseL44gtsv_nopivot_strided_batch_pcr_shared_kernelILj8EdEEviiiPKT0_S3_S3_PS1_
; %bb.0:
	s_load_dword s3, s[0:1], 0x8
	s_load_dword s8, s[0:1], 0x0
	v_mov_b64_e32 v[4:5], 0
	v_mov_b64_e32 v[6:7], 0
	s_waitcnt lgkmcnt(0)
	s_mul_i32 s4, s3, s2
	v_add_u32_e32 v2, s4, v0
	v_cmp_gt_i32_e64 s[2:3], s8, v0
	v_ashrrev_i32_e32 v3, 31, v2
	s_and_saveexec_b64 s[4:5], s[2:3]
	s_cbranch_execz .LBB31_2
; %bb.1:
	s_load_dwordx2 s[6:7], s[0:1], 0x10
	s_waitcnt lgkmcnt(0)
	v_lshl_add_u64 v[6:7], v[2:3], 3, s[6:7]
	global_load_dwordx2 v[6:7], v[6:7], off
.LBB31_2:
	s_or_b64 exec, exec, s[4:5]
	v_lshlrev_b32_e32 v1, 3, v0
	s_waitcnt vmcnt(0)
	ds_write_b64 v1, v[6:7]
	s_and_saveexec_b64 s[4:5], s[2:3]
	s_cbranch_execz .LBB31_4
; %bb.3:
	s_load_dwordx2 s[6:7], s[0:1], 0x18
	s_waitcnt lgkmcnt(0)
	v_lshl_add_u64 v[4:5], v[2:3], 3, s[6:7]
	global_load_dwordx2 v[4:5], v[4:5], off
.LBB31_4:
	s_or_b64 exec, exec, s[4:5]
	s_load_dwordx2 s[4:5], s[0:1], 0x28
	s_waitcnt vmcnt(0)
	ds_write_b64 v1, v[4:5] offset:64
	v_mov_b64_e32 v[4:5], 0
	v_mov_b64_e32 v[8:9], 0
	s_and_saveexec_b64 s[6:7], s[2:3]
	s_cbranch_execz .LBB31_6
; %bb.5:
	s_load_dwordx2 s[0:1], s[0:1], 0x20
	s_waitcnt lgkmcnt(0)
	v_lshl_add_u64 v[6:7], v[2:3], 3, s[0:1]
	global_load_dwordx2 v[8:9], v[6:7], off
.LBB31_6:
	s_or_b64 exec, exec, s[6:7]
	v_or_b32_e32 v6, 64, v1
	v_or_b32_e32 v7, 0x80, v1
	s_waitcnt vmcnt(0)
	ds_write_b64 v1, v[8:9] offset:128
	s_and_saveexec_b64 s[0:1], s[2:3]
	s_cbranch_execz .LBB31_8
; %bb.7:
	s_waitcnt lgkmcnt(0)
	v_lshl_add_u64 v[4:5], v[2:3], 3, s[4:5]
	global_load_dwordx2 v[4:5], v[4:5], off
.LBB31_8:
	s_or_b64 exec, exec, s[0:1]
	s_waitcnt vmcnt(0)
	ds_write_b64 v1, v[4:5] offset:256
	v_sub_u32_e64 v4, v0, 1 clamp
	v_lshlrev_b32_e32 v32, 3, v4
	s_waitcnt lgkmcnt(0)
	; wave barrier
	ds_read2_b64 v[8:11], v32 offset1:8
	ds_read_b64 v[4:5], v1
	ds_read_b64 v[24:25], v7
	;; [unrolled: 1-line block ×3, first 2 shown]
	ds_read_b64 v[28:29], v1 offset:256
	s_add_i32 s6, s8, -1
	s_waitcnt lgkmcnt(3)
	v_div_scale_f64 v[16:17], s[0:1], v[10:11], v[10:11], v[4:5]
	v_rcp_f64_e32 v[18:19], v[16:17]
	v_add_u32_e32 v12, 1, v0
	v_min_i32_e32 v14, s6, v12
	v_lshlrev_b32_e32 v33, 3, v14
	v_fma_f64 v[12:13], -v[16:17], v[18:19], 1.0
	v_fmac_f64_e32 v[18:19], v[18:19], v[12:13]
	v_fma_f64 v[12:13], -v[16:17], v[18:19], 1.0
	v_fmac_f64_e32 v[18:19], v[18:19], v[12:13]
	ds_read2_b64 v[12:15], v33 offset1:8
	v_div_scale_f64 v[20:21], vcc, v[4:5], v[10:11], v[4:5]
	v_mul_f64 v[22:23], v[20:21], v[18:19]
	v_fma_f64 v[16:17], -v[16:17], v[22:23], v[20:21]
	s_waitcnt lgkmcnt(0)
	v_div_scale_f64 v[20:21], s[0:1], v[14:15], v[14:15], v[24:25]
	v_rcp_f64_e32 v[30:31], v[20:21]
	v_div_fmas_f64 v[16:17], v[16:17], v[18:19], v[22:23]
	v_div_fixup_f64 v[4:5], v[16:17], v[10:11], v[4:5]
	ds_read2_b64 v[16:19], v32 offset0:16 offset1:32
	v_fma_f64 v[10:11], -v[20:21], v[30:31], 1.0
	v_fmac_f64_e32 v[30:31], v[30:31], v[10:11]
	v_fma_f64 v[10:11], -v[20:21], v[30:31], 1.0
	v_fmac_f64_e32 v[30:31], v[30:31], v[10:11]
	v_div_scale_f64 v[10:11], vcc, v[24:25], v[14:15], v[24:25]
	v_mul_f64 v[22:23], v[10:11], v[30:31]
	v_fma_f64 v[10:11], -v[20:21], v[22:23], v[10:11]
	s_nop 1
	v_div_fmas_f64 v[10:11], v[10:11], v[30:31], v[22:23]
	ds_read2_b64 v[20:23], v33 offset0:16 offset1:32
	v_div_fixup_f64 v[10:11], v[10:11], v[14:15], v[24:25]
	s_waitcnt lgkmcnt(1)
	v_fma_f64 v[14:15], -v[4:5], v[16:17], v[26:27]
	v_fma_f64 v[12:13], -v[10:11], v[12:13], v[14:15]
	;; [unrolled: 1-line block ×3, first 2 shown]
	v_mul_f64 v[4:5], v[4:5], -v[8:9]
	s_waitcnt lgkmcnt(0)
	v_fma_f64 v[14:15], -v[10:11], v[22:23], v[14:15]
	v_mul_f64 v[8:9], v[10:11], -v[20:21]
	; wave barrier
	ds_write_b64 v6, v[12:13]
	ds_write_b64 v1, v[14:15] offset:256
	ds_write_b64 v1, v[4:5]
	ds_write_b64 v7, v[8:9]
	v_sub_u32_e64 v4, v0, 2 clamp
	v_lshlrev_b32_e32 v32, 3, v4
	s_waitcnt lgkmcnt(0)
	; wave barrier
	ds_read2_b64 v[8:11], v32 offset1:8
	ds_read_b64 v[4:5], v1
	ds_read_b64 v[24:25], v1 offset:256
	v_add_u32_e32 v12, 2, v0
	v_min_i32_e32 v14, s6, v12
	v_lshlrev_b32_e32 v33, 3, v14
	s_waitcnt lgkmcnt(1)
	v_div_scale_f64 v[16:17], s[0:1], v[10:11], v[10:11], v[4:5]
	v_rcp_f64_e32 v[18:19], v[16:17]
	ds_read_b64 v[26:27], v7
	ds_read_b64 v[28:29], v6
	v_div_scale_f64 v[20:21], vcc, v[4:5], v[10:11], v[4:5]
	v_fma_f64 v[12:13], -v[16:17], v[18:19], 1.0
	v_fmac_f64_e32 v[18:19], v[18:19], v[12:13]
	v_fma_f64 v[12:13], -v[16:17], v[18:19], 1.0
	v_fmac_f64_e32 v[18:19], v[18:19], v[12:13]
	ds_read2_b64 v[12:15], v33 offset1:8
	v_mul_f64 v[22:23], v[20:21], v[18:19]
	v_fma_f64 v[16:17], -v[16:17], v[22:23], v[20:21]
	v_div_fmas_f64 v[16:17], v[16:17], v[18:19], v[22:23]
	v_div_fixup_f64 v[4:5], v[16:17], v[10:11], v[4:5]
	s_waitcnt lgkmcnt(0)
	v_div_scale_f64 v[20:21], s[0:1], v[14:15], v[14:15], v[26:27]
	v_rcp_f64_e32 v[30:31], v[20:21]
	ds_read2_b64 v[16:19], v32 offset0:16 offset1:32
	v_fma_f64 v[10:11], -v[20:21], v[30:31], 1.0
	v_fmac_f64_e32 v[30:31], v[30:31], v[10:11]
	v_fma_f64 v[10:11], -v[20:21], v[30:31], 1.0
	v_fmac_f64_e32 v[30:31], v[30:31], v[10:11]
	v_div_scale_f64 v[10:11], vcc, v[26:27], v[14:15], v[26:27]
	v_mul_f64 v[22:23], v[10:11], v[30:31]
	v_fma_f64 v[10:11], -v[20:21], v[22:23], v[10:11]
	s_nop 1
	v_div_fmas_f64 v[10:11], v[10:11], v[30:31], v[22:23]
	ds_read2_b64 v[20:23], v33 offset0:16 offset1:32
	v_div_fixup_f64 v[10:11], v[10:11], v[14:15], v[26:27]
	s_waitcnt lgkmcnt(1)
	v_fma_f64 v[14:15], -v[4:5], v[16:17], v[28:29]
	v_fma_f64 v[12:13], -v[10:11], v[12:13], v[14:15]
	;; [unrolled: 1-line block ×3, first 2 shown]
	v_cmp_gt_u32_e32 vcc, 4, v0
	s_waitcnt lgkmcnt(0)
	v_fma_f64 v[14:15], -v[10:11], v[22:23], v[14:15]
	v_mul_f64 v[4:5], v[4:5], -v[8:9]
	v_mul_f64 v[8:9], v[10:11], -v[20:21]
	; wave barrier
	ds_write_b64 v6, v[12:13]
	ds_write_b64 v1, v[14:15] offset:256
	ds_write_b64 v1, v[4:5]
	ds_write_b64 v7, v[8:9]
	s_waitcnt lgkmcnt(0)
	; wave barrier
	s_and_saveexec_b64 s[0:1], vcc
	s_cbranch_execz .LBB31_14
; %bb.9:
	v_or_b32_e32 v8, 4, v0
	v_or_b32_e32 v9, 0x100, v1
	v_cmp_le_i32_e32 vcc, s8, v8
                                        ; implicit-def: $vgpr4_vgpr5
	s_and_saveexec_b64 s[6:7], vcc
	s_xor_b64 s[6:7], exec, s[6:7]
	s_cbranch_execz .LBB31_11
; %bb.10:
	ds_read_b64 v[4:5], v9
	ds_read_b64 v[6:7], v6
	s_waitcnt lgkmcnt(0)
	v_div_scale_f64 v[8:9], s[8:9], v[6:7], v[6:7], v[4:5]
	v_rcp_f64_e32 v[10:11], v[8:9]
	v_div_scale_f64 v[12:13], vcc, v[4:5], v[6:7], v[4:5]
	v_fma_f64 v[14:15], -v[8:9], v[10:11], 1.0
	v_fmac_f64_e32 v[10:11], v[10:11], v[14:15]
	v_fma_f64 v[14:15], -v[8:9], v[10:11], 1.0
	v_fmac_f64_e32 v[10:11], v[10:11], v[14:15]
	v_mul_f64 v[14:15], v[12:13], v[10:11]
	v_fma_f64 v[8:9], -v[8:9], v[14:15], v[12:13]
	v_div_fmas_f64 v[8:9], v[8:9], v[10:11], v[14:15]
	v_div_fixup_f64 v[4:5], v[8:9], v[6:7], v[4:5]
                                        ; implicit-def: $vgpr6
                                        ; implicit-def: $vgpr7
                                        ; implicit-def: $vgpr9
                                        ; implicit-def: $vgpr8
.LBB31_11:
	s_andn2_saveexec_b64 s[6:7], s[6:7]
	s_cbranch_execz .LBB31_13
; %bb.12:
	ds_read_b64 v[14:15], v7
	ds_read_b64 v[16:17], v1 offset:32
	ds_read2_b64 v[4:7], v6 offset1:4
	v_mov_b32_e32 v0, v8
	s_waitcnt lgkmcnt(1)
	v_mul_f64 v[10:11], v[14:15], v[16:17]
	s_waitcnt lgkmcnt(0)
	v_fma_f64 v[18:19], v[6:7], v[4:5], -v[10:11]
	v_div_scale_f64 v[20:21], s[8:9], v[18:19], v[18:19], 1.0
	v_rcp_f64_e32 v[22:23], v[20:21]
	ds_read2_b64 v[10:13], v9 offset1:4
	v_div_scale_f64 v[24:25], vcc, 1.0, v[18:19], 1.0
	v_fma_f64 v[26:27], -v[20:21], v[22:23], 1.0
	v_fmac_f64_e32 v[22:23], v[22:23], v[26:27]
	v_fma_f64 v[26:27], -v[20:21], v[22:23], 1.0
	v_fmac_f64_e32 v[22:23], v[22:23], v[26:27]
	v_mul_f64 v[26:27], v[24:25], v[22:23]
	v_fma_f64 v[20:21], -v[20:21], v[26:27], v[24:25]
	v_div_fmas_f64 v[20:21], v[20:21], v[22:23], v[26:27]
	s_waitcnt lgkmcnt(0)
	v_mul_f64 v[14:15], v[14:15], v[12:13]
	v_div_fixup_f64 v[18:19], v[20:21], v[18:19], 1.0
	v_fma_f64 v[6:7], v[6:7], v[10:11], -v[14:15]
	v_mul_f64 v[6:7], v[18:19], v[6:7]
	ds_write_b64 v1, v[6:7] offset:192
	v_mul_f64 v[6:7], v[16:17], v[10:11]
	v_fma_f64 v[4:5], v[4:5], v[12:13], -v[6:7]
	v_mul_f64 v[4:5], v[18:19], v[4:5]
.LBB31_13:
	s_or_b64 exec, exec, s[6:7]
	v_lshlrev_b32_e32 v0, 3, v0
	ds_write_b64 v0, v[4:5] offset:192
.LBB31_14:
	s_or_b64 exec, exec, s[0:1]
	s_waitcnt lgkmcnt(0)
	; wave barrier
	s_and_saveexec_b64 s[0:1], s[2:3]
	s_cbranch_execz .LBB31_16
; %bb.15:
	ds_read_b64 v[0:1], v1 offset:192
	v_lshl_add_u64 v[2:3], v[2:3], 3, s[4:5]
	s_waitcnt lgkmcnt(0)
	global_store_dwordx2 v[2:3], v[0:1], off
.LBB31_16:
	s_endpgm
	.section	.rodata,"a",@progbits
	.p2align	6, 0x0
	.amdhsa_kernel _ZN9rocsparseL44gtsv_nopivot_strided_batch_pcr_shared_kernelILj8EdEEviiiPKT0_S3_S3_PS1_
		.amdhsa_group_segment_fixed_size 320
		.amdhsa_private_segment_fixed_size 0
		.amdhsa_kernarg_size 48
		.amdhsa_user_sgpr_count 2
		.amdhsa_user_sgpr_dispatch_ptr 0
		.amdhsa_user_sgpr_queue_ptr 0
		.amdhsa_user_sgpr_kernarg_segment_ptr 1
		.amdhsa_user_sgpr_dispatch_id 0
		.amdhsa_user_sgpr_kernarg_preload_length 0
		.amdhsa_user_sgpr_kernarg_preload_offset 0
		.amdhsa_user_sgpr_private_segment_size 0
		.amdhsa_uses_dynamic_stack 0
		.amdhsa_enable_private_segment 0
		.amdhsa_system_sgpr_workgroup_id_x 1
		.amdhsa_system_sgpr_workgroup_id_y 0
		.amdhsa_system_sgpr_workgroup_id_z 0
		.amdhsa_system_sgpr_workgroup_info 0
		.amdhsa_system_vgpr_workitem_id 0
		.amdhsa_next_free_vgpr 34
		.amdhsa_next_free_sgpr 10
		.amdhsa_accum_offset 36
		.amdhsa_reserve_vcc 1
		.amdhsa_float_round_mode_32 0
		.amdhsa_float_round_mode_16_64 0
		.amdhsa_float_denorm_mode_32 3
		.amdhsa_float_denorm_mode_16_64 3
		.amdhsa_dx10_clamp 1
		.amdhsa_ieee_mode 1
		.amdhsa_fp16_overflow 0
		.amdhsa_tg_split 0
		.amdhsa_exception_fp_ieee_invalid_op 0
		.amdhsa_exception_fp_denorm_src 0
		.amdhsa_exception_fp_ieee_div_zero 0
		.amdhsa_exception_fp_ieee_overflow 0
		.amdhsa_exception_fp_ieee_underflow 0
		.amdhsa_exception_fp_ieee_inexact 0
		.amdhsa_exception_int_div_zero 0
	.end_amdhsa_kernel
	.section	.text._ZN9rocsparseL44gtsv_nopivot_strided_batch_pcr_shared_kernelILj8EdEEviiiPKT0_S3_S3_PS1_,"axG",@progbits,_ZN9rocsparseL44gtsv_nopivot_strided_batch_pcr_shared_kernelILj8EdEEviiiPKT0_S3_S3_PS1_,comdat
.Lfunc_end31:
	.size	_ZN9rocsparseL44gtsv_nopivot_strided_batch_pcr_shared_kernelILj8EdEEviiiPKT0_S3_S3_PS1_, .Lfunc_end31-_ZN9rocsparseL44gtsv_nopivot_strided_batch_pcr_shared_kernelILj8EdEEviiiPKT0_S3_S3_PS1_
                                        ; -- End function
	.set _ZN9rocsparseL44gtsv_nopivot_strided_batch_pcr_shared_kernelILj8EdEEviiiPKT0_S3_S3_PS1_.num_vgpr, 34
	.set _ZN9rocsparseL44gtsv_nopivot_strided_batch_pcr_shared_kernelILj8EdEEviiiPKT0_S3_S3_PS1_.num_agpr, 0
	.set _ZN9rocsparseL44gtsv_nopivot_strided_batch_pcr_shared_kernelILj8EdEEviiiPKT0_S3_S3_PS1_.numbered_sgpr, 10
	.set _ZN9rocsparseL44gtsv_nopivot_strided_batch_pcr_shared_kernelILj8EdEEviiiPKT0_S3_S3_PS1_.num_named_barrier, 0
	.set _ZN9rocsparseL44gtsv_nopivot_strided_batch_pcr_shared_kernelILj8EdEEviiiPKT0_S3_S3_PS1_.private_seg_size, 0
	.set _ZN9rocsparseL44gtsv_nopivot_strided_batch_pcr_shared_kernelILj8EdEEviiiPKT0_S3_S3_PS1_.uses_vcc, 1
	.set _ZN9rocsparseL44gtsv_nopivot_strided_batch_pcr_shared_kernelILj8EdEEviiiPKT0_S3_S3_PS1_.uses_flat_scratch, 0
	.set _ZN9rocsparseL44gtsv_nopivot_strided_batch_pcr_shared_kernelILj8EdEEviiiPKT0_S3_S3_PS1_.has_dyn_sized_stack, 0
	.set _ZN9rocsparseL44gtsv_nopivot_strided_batch_pcr_shared_kernelILj8EdEEviiiPKT0_S3_S3_PS1_.has_recursion, 0
	.set _ZN9rocsparseL44gtsv_nopivot_strided_batch_pcr_shared_kernelILj8EdEEviiiPKT0_S3_S3_PS1_.has_indirect_call, 0
	.section	.AMDGPU.csdata,"",@progbits
; Kernel info:
; codeLenInByte = 1380
; TotalNumSgprs: 16
; NumVgprs: 34
; NumAgprs: 0
; TotalNumVgprs: 34
; ScratchSize: 0
; MemoryBound: 0
; FloatMode: 240
; IeeeMode: 1
; LDSByteSize: 320 bytes/workgroup (compile time only)
; SGPRBlocks: 1
; VGPRBlocks: 4
; NumSGPRsForWavesPerEU: 16
; NumVGPRsForWavesPerEU: 34
; AccumOffset: 36
; Occupancy: 8
; WaveLimiterHint : 0
; COMPUTE_PGM_RSRC2:SCRATCH_EN: 0
; COMPUTE_PGM_RSRC2:USER_SGPR: 2
; COMPUTE_PGM_RSRC2:TRAP_HANDLER: 0
; COMPUTE_PGM_RSRC2:TGID_X_EN: 1
; COMPUTE_PGM_RSRC2:TGID_Y_EN: 0
; COMPUTE_PGM_RSRC2:TGID_Z_EN: 0
; COMPUTE_PGM_RSRC2:TIDIG_COMP_CNT: 0
; COMPUTE_PGM_RSRC3_GFX90A:ACCUM_OFFSET: 8
; COMPUTE_PGM_RSRC3_GFX90A:TG_SPLIT: 0
	.section	.text._ZN9rocsparseL44gtsv_nopivot_strided_batch_pcr_shared_kernelILj16EdEEviiiPKT0_S3_S3_PS1_,"axG",@progbits,_ZN9rocsparseL44gtsv_nopivot_strided_batch_pcr_shared_kernelILj16EdEEviiiPKT0_S3_S3_PS1_,comdat
	.globl	_ZN9rocsparseL44gtsv_nopivot_strided_batch_pcr_shared_kernelILj16EdEEviiiPKT0_S3_S3_PS1_ ; -- Begin function _ZN9rocsparseL44gtsv_nopivot_strided_batch_pcr_shared_kernelILj16EdEEviiiPKT0_S3_S3_PS1_
	.p2align	8
	.type	_ZN9rocsparseL44gtsv_nopivot_strided_batch_pcr_shared_kernelILj16EdEEviiiPKT0_S3_S3_PS1_,@function
_ZN9rocsparseL44gtsv_nopivot_strided_batch_pcr_shared_kernelILj16EdEEviiiPKT0_S3_S3_PS1_: ; @_ZN9rocsparseL44gtsv_nopivot_strided_batch_pcr_shared_kernelILj16EdEEviiiPKT0_S3_S3_PS1_
; %bb.0:
	s_load_dword s3, s[0:1], 0x8
	s_load_dword s8, s[0:1], 0x0
	v_mov_b64_e32 v[4:5], 0
	v_mov_b64_e32 v[6:7], 0
	s_waitcnt lgkmcnt(0)
	s_mul_i32 s4, s3, s2
	v_add_u32_e32 v2, s4, v0
	v_cmp_gt_i32_e64 s[2:3], s8, v0
	v_ashrrev_i32_e32 v3, 31, v2
	s_and_saveexec_b64 s[4:5], s[2:3]
	s_cbranch_execz .LBB32_2
; %bb.1:
	s_load_dwordx2 s[6:7], s[0:1], 0x10
	s_waitcnt lgkmcnt(0)
	v_lshl_add_u64 v[6:7], v[2:3], 3, s[6:7]
	global_load_dwordx2 v[6:7], v[6:7], off
.LBB32_2:
	s_or_b64 exec, exec, s[4:5]
	v_lshlrev_b32_e32 v1, 3, v0
	s_waitcnt vmcnt(0)
	ds_write_b64 v1, v[6:7]
	s_and_saveexec_b64 s[4:5], s[2:3]
	s_cbranch_execz .LBB32_4
; %bb.3:
	s_load_dwordx2 s[6:7], s[0:1], 0x18
	s_waitcnt lgkmcnt(0)
	v_lshl_add_u64 v[4:5], v[2:3], 3, s[6:7]
	global_load_dwordx2 v[4:5], v[4:5], off
.LBB32_4:
	s_or_b64 exec, exec, s[4:5]
	s_load_dwordx2 s[4:5], s[0:1], 0x28
	s_waitcnt vmcnt(0)
	ds_write_b64 v1, v[4:5] offset:128
	v_mov_b64_e32 v[4:5], 0
	v_mov_b64_e32 v[8:9], 0
	s_and_saveexec_b64 s[6:7], s[2:3]
	s_cbranch_execz .LBB32_6
; %bb.5:
	s_load_dwordx2 s[0:1], s[0:1], 0x20
	s_waitcnt lgkmcnt(0)
	v_lshl_add_u64 v[6:7], v[2:3], 3, s[0:1]
	global_load_dwordx2 v[8:9], v[6:7], off
.LBB32_6:
	s_or_b64 exec, exec, s[6:7]
	v_or_b32_e32 v6, 0x80, v1
	v_or_b32_e32 v7, 0x100, v1
	s_waitcnt vmcnt(0)
	ds_write_b64 v1, v[8:9] offset:256
	s_and_saveexec_b64 s[0:1], s[2:3]
	s_cbranch_execz .LBB32_8
; %bb.7:
	s_waitcnt lgkmcnt(0)
	v_lshl_add_u64 v[4:5], v[2:3], 3, s[4:5]
	global_load_dwordx2 v[4:5], v[4:5], off
.LBB32_8:
	s_or_b64 exec, exec, s[0:1]
	s_waitcnt vmcnt(0)
	ds_write_b64 v1, v[4:5] offset:512
	v_sub_u32_e64 v4, v0, 1 clamp
	v_lshlrev_b32_e32 v32, 3, v4
	s_waitcnt lgkmcnt(0)
	; wave barrier
	ds_read2_b64 v[8:11], v32 offset1:16
	ds_read_b64 v[4:5], v1
	ds_read_b64 v[24:25], v7
	;; [unrolled: 1-line block ×3, first 2 shown]
	ds_read_b64 v[28:29], v1 offset:512
	s_add_i32 s6, s8, -1
	s_waitcnt lgkmcnt(3)
	v_div_scale_f64 v[16:17], s[0:1], v[10:11], v[10:11], v[4:5]
	v_rcp_f64_e32 v[18:19], v[16:17]
	v_add_u32_e32 v12, 1, v0
	v_min_i32_e32 v14, s6, v12
	v_lshlrev_b32_e32 v33, 3, v14
	v_fma_f64 v[12:13], -v[16:17], v[18:19], 1.0
	v_fmac_f64_e32 v[18:19], v[18:19], v[12:13]
	v_fma_f64 v[12:13], -v[16:17], v[18:19], 1.0
	v_fmac_f64_e32 v[18:19], v[18:19], v[12:13]
	ds_read2_b64 v[12:15], v33 offset1:16
	v_div_scale_f64 v[20:21], vcc, v[4:5], v[10:11], v[4:5]
	v_mul_f64 v[22:23], v[20:21], v[18:19]
	v_fma_f64 v[16:17], -v[16:17], v[22:23], v[20:21]
	s_waitcnt lgkmcnt(0)
	v_div_scale_f64 v[20:21], s[0:1], v[14:15], v[14:15], v[24:25]
	v_rcp_f64_e32 v[30:31], v[20:21]
	v_div_fmas_f64 v[16:17], v[16:17], v[18:19], v[22:23]
	v_div_fixup_f64 v[4:5], v[16:17], v[10:11], v[4:5]
	ds_read2_b64 v[16:19], v32 offset0:32 offset1:64
	v_fma_f64 v[10:11], -v[20:21], v[30:31], 1.0
	v_fmac_f64_e32 v[30:31], v[30:31], v[10:11]
	v_fma_f64 v[10:11], -v[20:21], v[30:31], 1.0
	v_fmac_f64_e32 v[30:31], v[30:31], v[10:11]
	v_div_scale_f64 v[10:11], vcc, v[24:25], v[14:15], v[24:25]
	v_mul_f64 v[22:23], v[10:11], v[30:31]
	v_fma_f64 v[10:11], -v[20:21], v[22:23], v[10:11]
	s_nop 1
	v_div_fmas_f64 v[10:11], v[10:11], v[30:31], v[22:23]
	ds_read2_b64 v[20:23], v33 offset0:32 offset1:64
	v_div_fixup_f64 v[10:11], v[10:11], v[14:15], v[24:25]
	s_waitcnt lgkmcnt(1)
	v_fma_f64 v[14:15], -v[4:5], v[16:17], v[26:27]
	v_fma_f64 v[12:13], -v[10:11], v[12:13], v[14:15]
	;; [unrolled: 1-line block ×3, first 2 shown]
	v_mul_f64 v[4:5], v[4:5], -v[8:9]
	s_waitcnt lgkmcnt(0)
	v_fma_f64 v[14:15], -v[10:11], v[22:23], v[14:15]
	v_mul_f64 v[8:9], v[10:11], -v[20:21]
	; wave barrier
	ds_write_b64 v6, v[12:13]
	ds_write_b64 v1, v[14:15] offset:512
	ds_write_b64 v1, v[4:5]
	ds_write_b64 v7, v[8:9]
	v_sub_u32_e64 v4, v0, 2 clamp
	v_lshlrev_b32_e32 v32, 3, v4
	s_waitcnt lgkmcnt(0)
	; wave barrier
	ds_read2_b64 v[8:11], v32 offset1:16
	ds_read_b64 v[4:5], v1
	ds_read_b64 v[24:25], v1 offset:512
	v_add_u32_e32 v12, 2, v0
	v_min_i32_e32 v14, s6, v12
	v_lshlrev_b32_e32 v33, 3, v14
	s_waitcnt lgkmcnt(1)
	v_div_scale_f64 v[16:17], s[0:1], v[10:11], v[10:11], v[4:5]
	v_rcp_f64_e32 v[18:19], v[16:17]
	ds_read_b64 v[26:27], v7
	ds_read_b64 v[28:29], v6
	v_div_scale_f64 v[20:21], vcc, v[4:5], v[10:11], v[4:5]
	v_fma_f64 v[12:13], -v[16:17], v[18:19], 1.0
	v_fmac_f64_e32 v[18:19], v[18:19], v[12:13]
	v_fma_f64 v[12:13], -v[16:17], v[18:19], 1.0
	v_fmac_f64_e32 v[18:19], v[18:19], v[12:13]
	ds_read2_b64 v[12:15], v33 offset1:16
	v_mul_f64 v[22:23], v[20:21], v[18:19]
	v_fma_f64 v[16:17], -v[16:17], v[22:23], v[20:21]
	v_div_fmas_f64 v[16:17], v[16:17], v[18:19], v[22:23]
	v_div_fixup_f64 v[4:5], v[16:17], v[10:11], v[4:5]
	s_waitcnt lgkmcnt(0)
	v_div_scale_f64 v[20:21], s[0:1], v[14:15], v[14:15], v[26:27]
	v_rcp_f64_e32 v[30:31], v[20:21]
	ds_read2_b64 v[16:19], v32 offset0:32 offset1:64
	v_fma_f64 v[10:11], -v[20:21], v[30:31], 1.0
	v_fmac_f64_e32 v[30:31], v[30:31], v[10:11]
	v_fma_f64 v[10:11], -v[20:21], v[30:31], 1.0
	v_fmac_f64_e32 v[30:31], v[30:31], v[10:11]
	v_div_scale_f64 v[10:11], vcc, v[26:27], v[14:15], v[26:27]
	v_mul_f64 v[22:23], v[10:11], v[30:31]
	v_fma_f64 v[10:11], -v[20:21], v[22:23], v[10:11]
	s_nop 1
	v_div_fmas_f64 v[10:11], v[10:11], v[30:31], v[22:23]
	ds_read2_b64 v[20:23], v33 offset0:32 offset1:64
	v_div_fixup_f64 v[10:11], v[10:11], v[14:15], v[26:27]
	s_waitcnt lgkmcnt(1)
	v_fma_f64 v[14:15], -v[4:5], v[16:17], v[28:29]
	v_fma_f64 v[12:13], -v[10:11], v[12:13], v[14:15]
	;; [unrolled: 1-line block ×3, first 2 shown]
	v_mul_f64 v[4:5], v[4:5], -v[8:9]
	s_waitcnt lgkmcnt(0)
	v_fma_f64 v[14:15], -v[10:11], v[22:23], v[14:15]
	v_mul_f64 v[8:9], v[10:11], -v[20:21]
	; wave barrier
	ds_write_b64 v6, v[12:13]
	ds_write_b64 v1, v[14:15] offset:512
	ds_write_b64 v1, v[4:5]
	ds_write_b64 v7, v[8:9]
	v_sub_u32_e64 v4, v0, 4 clamp
	v_lshlrev_b32_e32 v32, 3, v4
	s_waitcnt lgkmcnt(0)
	; wave barrier
	ds_read2_b64 v[8:11], v32 offset1:16
	ds_read_b64 v[4:5], v1
	ds_read_b64 v[24:25], v1 offset:512
	v_add_u32_e32 v12, 4, v0
	v_min_i32_e32 v14, s6, v12
	v_lshlrev_b32_e32 v33, 3, v14
	s_waitcnt lgkmcnt(1)
	v_div_scale_f64 v[16:17], s[0:1], v[10:11], v[10:11], v[4:5]
	v_rcp_f64_e32 v[18:19], v[16:17]
	ds_read_b64 v[26:27], v7
	ds_read_b64 v[28:29], v6
	v_div_scale_f64 v[20:21], vcc, v[4:5], v[10:11], v[4:5]
	v_fma_f64 v[12:13], -v[16:17], v[18:19], 1.0
	v_fmac_f64_e32 v[18:19], v[18:19], v[12:13]
	v_fma_f64 v[12:13], -v[16:17], v[18:19], 1.0
	v_fmac_f64_e32 v[18:19], v[18:19], v[12:13]
	ds_read2_b64 v[12:15], v33 offset1:16
	v_mul_f64 v[22:23], v[20:21], v[18:19]
	v_fma_f64 v[16:17], -v[16:17], v[22:23], v[20:21]
	v_div_fmas_f64 v[16:17], v[16:17], v[18:19], v[22:23]
	v_div_fixup_f64 v[4:5], v[16:17], v[10:11], v[4:5]
	s_waitcnt lgkmcnt(0)
	v_div_scale_f64 v[20:21], s[0:1], v[14:15], v[14:15], v[26:27]
	v_rcp_f64_e32 v[30:31], v[20:21]
	ds_read2_b64 v[16:19], v32 offset0:32 offset1:64
	v_fma_f64 v[10:11], -v[20:21], v[30:31], 1.0
	v_fmac_f64_e32 v[30:31], v[30:31], v[10:11]
	v_fma_f64 v[10:11], -v[20:21], v[30:31], 1.0
	v_fmac_f64_e32 v[30:31], v[30:31], v[10:11]
	v_div_scale_f64 v[10:11], vcc, v[26:27], v[14:15], v[26:27]
	v_mul_f64 v[22:23], v[10:11], v[30:31]
	v_fma_f64 v[10:11], -v[20:21], v[22:23], v[10:11]
	s_nop 1
	v_div_fmas_f64 v[10:11], v[10:11], v[30:31], v[22:23]
	ds_read2_b64 v[20:23], v33 offset0:32 offset1:64
	v_div_fixup_f64 v[10:11], v[10:11], v[14:15], v[26:27]
	s_waitcnt lgkmcnt(1)
	v_fma_f64 v[14:15], -v[4:5], v[16:17], v[28:29]
	v_fma_f64 v[12:13], -v[10:11], v[12:13], v[14:15]
	;; [unrolled: 1-line block ×3, first 2 shown]
	v_cmp_gt_u32_e32 vcc, 8, v0
	s_waitcnt lgkmcnt(0)
	v_fma_f64 v[14:15], -v[10:11], v[22:23], v[14:15]
	v_mul_f64 v[4:5], v[4:5], -v[8:9]
	v_mul_f64 v[8:9], v[10:11], -v[20:21]
	; wave barrier
	ds_write_b64 v6, v[12:13]
	ds_write_b64 v1, v[14:15] offset:512
	ds_write_b64 v1, v[4:5]
	ds_write_b64 v7, v[8:9]
	s_waitcnt lgkmcnt(0)
	; wave barrier
	s_and_saveexec_b64 s[0:1], vcc
	s_cbranch_execz .LBB32_14
; %bb.9:
	v_or_b32_e32 v8, 8, v0
	v_or_b32_e32 v9, 0x200, v1
	v_cmp_le_i32_e32 vcc, s8, v8
                                        ; implicit-def: $vgpr4_vgpr5
	s_and_saveexec_b64 s[6:7], vcc
	s_xor_b64 s[6:7], exec, s[6:7]
	s_cbranch_execz .LBB32_11
; %bb.10:
	ds_read_b64 v[4:5], v9
	ds_read_b64 v[6:7], v6
	s_waitcnt lgkmcnt(0)
	v_div_scale_f64 v[8:9], s[8:9], v[6:7], v[6:7], v[4:5]
	v_rcp_f64_e32 v[10:11], v[8:9]
	v_div_scale_f64 v[12:13], vcc, v[4:5], v[6:7], v[4:5]
	v_fma_f64 v[14:15], -v[8:9], v[10:11], 1.0
	v_fmac_f64_e32 v[10:11], v[10:11], v[14:15]
	v_fma_f64 v[14:15], -v[8:9], v[10:11], 1.0
	v_fmac_f64_e32 v[10:11], v[10:11], v[14:15]
	v_mul_f64 v[14:15], v[12:13], v[10:11]
	v_fma_f64 v[8:9], -v[8:9], v[14:15], v[12:13]
	v_div_fmas_f64 v[8:9], v[8:9], v[10:11], v[14:15]
	v_div_fixup_f64 v[4:5], v[8:9], v[6:7], v[4:5]
                                        ; implicit-def: $vgpr6
                                        ; implicit-def: $vgpr7
                                        ; implicit-def: $vgpr9
                                        ; implicit-def: $vgpr8
.LBB32_11:
	s_andn2_saveexec_b64 s[6:7], s[6:7]
	s_cbranch_execz .LBB32_13
; %bb.12:
	ds_read_b64 v[14:15], v7
	ds_read_b64 v[16:17], v1 offset:64
	ds_read2_b64 v[4:7], v6 offset1:8
	v_mov_b32_e32 v0, v8
	s_waitcnt lgkmcnt(1)
	v_mul_f64 v[10:11], v[14:15], v[16:17]
	s_waitcnt lgkmcnt(0)
	v_fma_f64 v[18:19], v[6:7], v[4:5], -v[10:11]
	v_div_scale_f64 v[20:21], s[8:9], v[18:19], v[18:19], 1.0
	v_rcp_f64_e32 v[22:23], v[20:21]
	ds_read2_b64 v[10:13], v9 offset1:8
	v_div_scale_f64 v[24:25], vcc, 1.0, v[18:19], 1.0
	v_fma_f64 v[26:27], -v[20:21], v[22:23], 1.0
	v_fmac_f64_e32 v[22:23], v[22:23], v[26:27]
	v_fma_f64 v[26:27], -v[20:21], v[22:23], 1.0
	v_fmac_f64_e32 v[22:23], v[22:23], v[26:27]
	v_mul_f64 v[26:27], v[24:25], v[22:23]
	v_fma_f64 v[20:21], -v[20:21], v[26:27], v[24:25]
	v_div_fmas_f64 v[20:21], v[20:21], v[22:23], v[26:27]
	s_waitcnt lgkmcnt(0)
	v_mul_f64 v[14:15], v[14:15], v[12:13]
	v_div_fixup_f64 v[18:19], v[20:21], v[18:19], 1.0
	v_fma_f64 v[6:7], v[6:7], v[10:11], -v[14:15]
	v_mul_f64 v[6:7], v[18:19], v[6:7]
	ds_write_b64 v1, v[6:7] offset:384
	v_mul_f64 v[6:7], v[16:17], v[10:11]
	v_fma_f64 v[4:5], v[4:5], v[12:13], -v[6:7]
	v_mul_f64 v[4:5], v[18:19], v[4:5]
.LBB32_13:
	s_or_b64 exec, exec, s[6:7]
	v_lshlrev_b32_e32 v0, 3, v0
	ds_write_b64 v0, v[4:5] offset:384
.LBB32_14:
	s_or_b64 exec, exec, s[0:1]
	s_waitcnt lgkmcnt(0)
	; wave barrier
	s_and_saveexec_b64 s[0:1], s[2:3]
	s_cbranch_execz .LBB32_16
; %bb.15:
	ds_read_b64 v[0:1], v1 offset:384
	v_lshl_add_u64 v[2:3], v[2:3], 3, s[4:5]
	s_waitcnt lgkmcnt(0)
	global_store_dwordx2 v[2:3], v[0:1], off
.LBB32_16:
	s_endpgm
	.section	.rodata,"a",@progbits
	.p2align	6, 0x0
	.amdhsa_kernel _ZN9rocsparseL44gtsv_nopivot_strided_batch_pcr_shared_kernelILj16EdEEviiiPKT0_S3_S3_PS1_
		.amdhsa_group_segment_fixed_size 640
		.amdhsa_private_segment_fixed_size 0
		.amdhsa_kernarg_size 48
		.amdhsa_user_sgpr_count 2
		.amdhsa_user_sgpr_dispatch_ptr 0
		.amdhsa_user_sgpr_queue_ptr 0
		.amdhsa_user_sgpr_kernarg_segment_ptr 1
		.amdhsa_user_sgpr_dispatch_id 0
		.amdhsa_user_sgpr_kernarg_preload_length 0
		.amdhsa_user_sgpr_kernarg_preload_offset 0
		.amdhsa_user_sgpr_private_segment_size 0
		.amdhsa_uses_dynamic_stack 0
		.amdhsa_enable_private_segment 0
		.amdhsa_system_sgpr_workgroup_id_x 1
		.amdhsa_system_sgpr_workgroup_id_y 0
		.amdhsa_system_sgpr_workgroup_id_z 0
		.amdhsa_system_sgpr_workgroup_info 0
		.amdhsa_system_vgpr_workitem_id 0
		.amdhsa_next_free_vgpr 34
		.amdhsa_next_free_sgpr 10
		.amdhsa_accum_offset 36
		.amdhsa_reserve_vcc 1
		.amdhsa_float_round_mode_32 0
		.amdhsa_float_round_mode_16_64 0
		.amdhsa_float_denorm_mode_32 3
		.amdhsa_float_denorm_mode_16_64 3
		.amdhsa_dx10_clamp 1
		.amdhsa_ieee_mode 1
		.amdhsa_fp16_overflow 0
		.amdhsa_tg_split 0
		.amdhsa_exception_fp_ieee_invalid_op 0
		.amdhsa_exception_fp_denorm_src 0
		.amdhsa_exception_fp_ieee_div_zero 0
		.amdhsa_exception_fp_ieee_overflow 0
		.amdhsa_exception_fp_ieee_underflow 0
		.amdhsa_exception_fp_ieee_inexact 0
		.amdhsa_exception_int_div_zero 0
	.end_amdhsa_kernel
	.section	.text._ZN9rocsparseL44gtsv_nopivot_strided_batch_pcr_shared_kernelILj16EdEEviiiPKT0_S3_S3_PS1_,"axG",@progbits,_ZN9rocsparseL44gtsv_nopivot_strided_batch_pcr_shared_kernelILj16EdEEviiiPKT0_S3_S3_PS1_,comdat
.Lfunc_end32:
	.size	_ZN9rocsparseL44gtsv_nopivot_strided_batch_pcr_shared_kernelILj16EdEEviiiPKT0_S3_S3_PS1_, .Lfunc_end32-_ZN9rocsparseL44gtsv_nopivot_strided_batch_pcr_shared_kernelILj16EdEEviiiPKT0_S3_S3_PS1_
                                        ; -- End function
	.set _ZN9rocsparseL44gtsv_nopivot_strided_batch_pcr_shared_kernelILj16EdEEviiiPKT0_S3_S3_PS1_.num_vgpr, 34
	.set _ZN9rocsparseL44gtsv_nopivot_strided_batch_pcr_shared_kernelILj16EdEEviiiPKT0_S3_S3_PS1_.num_agpr, 0
	.set _ZN9rocsparseL44gtsv_nopivot_strided_batch_pcr_shared_kernelILj16EdEEviiiPKT0_S3_S3_PS1_.numbered_sgpr, 10
	.set _ZN9rocsparseL44gtsv_nopivot_strided_batch_pcr_shared_kernelILj16EdEEviiiPKT0_S3_S3_PS1_.num_named_barrier, 0
	.set _ZN9rocsparseL44gtsv_nopivot_strided_batch_pcr_shared_kernelILj16EdEEviiiPKT0_S3_S3_PS1_.private_seg_size, 0
	.set _ZN9rocsparseL44gtsv_nopivot_strided_batch_pcr_shared_kernelILj16EdEEviiiPKT0_S3_S3_PS1_.uses_vcc, 1
	.set _ZN9rocsparseL44gtsv_nopivot_strided_batch_pcr_shared_kernelILj16EdEEviiiPKT0_S3_S3_PS1_.uses_flat_scratch, 0
	.set _ZN9rocsparseL44gtsv_nopivot_strided_batch_pcr_shared_kernelILj16EdEEviiiPKT0_S3_S3_PS1_.has_dyn_sized_stack, 0
	.set _ZN9rocsparseL44gtsv_nopivot_strided_batch_pcr_shared_kernelILj16EdEEviiiPKT0_S3_S3_PS1_.has_recursion, 0
	.set _ZN9rocsparseL44gtsv_nopivot_strided_batch_pcr_shared_kernelILj16EdEEviiiPKT0_S3_S3_PS1_.has_indirect_call, 0
	.section	.AMDGPU.csdata,"",@progbits
; Kernel info:
; codeLenInByte = 1728
; TotalNumSgprs: 16
; NumVgprs: 34
; NumAgprs: 0
; TotalNumVgprs: 34
; ScratchSize: 0
; MemoryBound: 0
; FloatMode: 240
; IeeeMode: 1
; LDSByteSize: 640 bytes/workgroup (compile time only)
; SGPRBlocks: 1
; VGPRBlocks: 4
; NumSGPRsForWavesPerEU: 16
; NumVGPRsForWavesPerEU: 34
; AccumOffset: 36
; Occupancy: 8
; WaveLimiterHint : 0
; COMPUTE_PGM_RSRC2:SCRATCH_EN: 0
; COMPUTE_PGM_RSRC2:USER_SGPR: 2
; COMPUTE_PGM_RSRC2:TRAP_HANDLER: 0
; COMPUTE_PGM_RSRC2:TGID_X_EN: 1
; COMPUTE_PGM_RSRC2:TGID_Y_EN: 0
; COMPUTE_PGM_RSRC2:TGID_Z_EN: 0
; COMPUTE_PGM_RSRC2:TIDIG_COMP_CNT: 0
; COMPUTE_PGM_RSRC3_GFX90A:ACCUM_OFFSET: 8
; COMPUTE_PGM_RSRC3_GFX90A:TG_SPLIT: 0
	.section	.text._ZN9rocsparseL44gtsv_nopivot_strided_batch_pcr_shared_kernelILj32EdEEviiiPKT0_S3_S3_PS1_,"axG",@progbits,_ZN9rocsparseL44gtsv_nopivot_strided_batch_pcr_shared_kernelILj32EdEEviiiPKT0_S3_S3_PS1_,comdat
	.globl	_ZN9rocsparseL44gtsv_nopivot_strided_batch_pcr_shared_kernelILj32EdEEviiiPKT0_S3_S3_PS1_ ; -- Begin function _ZN9rocsparseL44gtsv_nopivot_strided_batch_pcr_shared_kernelILj32EdEEviiiPKT0_S3_S3_PS1_
	.p2align	8
	.type	_ZN9rocsparseL44gtsv_nopivot_strided_batch_pcr_shared_kernelILj32EdEEviiiPKT0_S3_S3_PS1_,@function
_ZN9rocsparseL44gtsv_nopivot_strided_batch_pcr_shared_kernelILj32EdEEviiiPKT0_S3_S3_PS1_: ; @_ZN9rocsparseL44gtsv_nopivot_strided_batch_pcr_shared_kernelILj32EdEEviiiPKT0_S3_S3_PS1_
; %bb.0:
	s_load_dword s3, s[0:1], 0x8
	s_load_dword s8, s[0:1], 0x0
	v_mov_b64_e32 v[4:5], 0
	v_mov_b64_e32 v[6:7], 0
	s_waitcnt lgkmcnt(0)
	s_mul_i32 s4, s3, s2
	v_add_u32_e32 v2, s4, v0
	v_cmp_gt_i32_e64 s[2:3], s8, v0
	v_ashrrev_i32_e32 v3, 31, v2
	s_and_saveexec_b64 s[4:5], s[2:3]
	s_cbranch_execz .LBB33_2
; %bb.1:
	s_load_dwordx2 s[6:7], s[0:1], 0x10
	s_waitcnt lgkmcnt(0)
	v_lshl_add_u64 v[6:7], v[2:3], 3, s[6:7]
	global_load_dwordx2 v[6:7], v[6:7], off
.LBB33_2:
	s_or_b64 exec, exec, s[4:5]
	v_lshlrev_b32_e32 v1, 3, v0
	s_waitcnt vmcnt(0)
	ds_write_b64 v1, v[6:7]
	s_and_saveexec_b64 s[4:5], s[2:3]
	s_cbranch_execz .LBB33_4
; %bb.3:
	s_load_dwordx2 s[6:7], s[0:1], 0x18
	s_waitcnt lgkmcnt(0)
	v_lshl_add_u64 v[4:5], v[2:3], 3, s[6:7]
	global_load_dwordx2 v[4:5], v[4:5], off
.LBB33_4:
	s_or_b64 exec, exec, s[4:5]
	s_load_dwordx2 s[4:5], s[0:1], 0x28
	s_waitcnt vmcnt(0)
	ds_write_b64 v1, v[4:5] offset:256
	v_mov_b64_e32 v[4:5], 0
	v_mov_b64_e32 v[8:9], 0
	s_and_saveexec_b64 s[6:7], s[2:3]
	s_cbranch_execz .LBB33_6
; %bb.5:
	s_load_dwordx2 s[0:1], s[0:1], 0x20
	s_waitcnt lgkmcnt(0)
	v_lshl_add_u64 v[6:7], v[2:3], 3, s[0:1]
	global_load_dwordx2 v[8:9], v[6:7], off
.LBB33_6:
	s_or_b64 exec, exec, s[6:7]
	v_or_b32_e32 v6, 0x100, v1
	v_or_b32_e32 v7, 0x200, v1
	s_waitcnt vmcnt(0)
	ds_write_b64 v1, v[8:9] offset:512
	s_and_saveexec_b64 s[0:1], s[2:3]
	s_cbranch_execz .LBB33_8
; %bb.7:
	s_waitcnt lgkmcnt(0)
	v_lshl_add_u64 v[4:5], v[2:3], 3, s[4:5]
	global_load_dwordx2 v[4:5], v[4:5], off
.LBB33_8:
	s_or_b64 exec, exec, s[0:1]
	s_waitcnt vmcnt(0)
	ds_write_b64 v1, v[4:5] offset:1024
	v_sub_u32_e64 v4, v0, 1 clamp
	v_lshlrev_b32_e32 v32, 3, v4
	s_waitcnt lgkmcnt(0)
	; wave barrier
	ds_read2_b64 v[8:11], v32 offset1:32
	ds_read_b64 v[4:5], v1
	ds_read_b64 v[24:25], v1 offset:1024
	v_add_u32_e32 v12, 1, v0
	ds_read_b64 v[26:27], v7
	ds_read_b64 v[28:29], v6
	s_waitcnt lgkmcnt(3)
	v_div_scale_f64 v[16:17], s[0:1], v[10:11], v[10:11], v[4:5]
	v_rcp_f64_e32 v[18:19], v[16:17]
	s_add_i32 s0, s8, -1
	v_min_i32_e32 v14, s0, v12
	v_lshlrev_b32_e32 v33, 3, v14
	v_fma_f64 v[12:13], -v[16:17], v[18:19], 1.0
	v_fmac_f64_e32 v[18:19], v[18:19], v[12:13]
	v_fma_f64 v[12:13], -v[16:17], v[18:19], 1.0
	v_fmac_f64_e32 v[18:19], v[18:19], v[12:13]
	ds_read2_b64 v[12:15], v33 offset1:32
	v_div_scale_f64 v[20:21], vcc, v[4:5], v[10:11], v[4:5]
	v_mul_f64 v[22:23], v[20:21], v[18:19]
	v_fma_f64 v[16:17], -v[16:17], v[22:23], v[20:21]
	s_waitcnt lgkmcnt(0)
	v_div_scale_f64 v[20:21], s[6:7], v[14:15], v[14:15], v[26:27]
	v_rcp_f64_e32 v[30:31], v[20:21]
	v_div_fmas_f64 v[16:17], v[16:17], v[18:19], v[22:23]
	v_div_fixup_f64 v[4:5], v[16:17], v[10:11], v[4:5]
	ds_read2st64_b64 v[16:19], v32 offset0:1 offset1:2
	v_fma_f64 v[10:11], -v[20:21], v[30:31], 1.0
	v_fmac_f64_e32 v[30:31], v[30:31], v[10:11]
	v_fma_f64 v[10:11], -v[20:21], v[30:31], 1.0
	v_fmac_f64_e32 v[30:31], v[30:31], v[10:11]
	v_div_scale_f64 v[10:11], vcc, v[26:27], v[14:15], v[26:27]
	v_mul_f64 v[22:23], v[10:11], v[30:31]
	v_fma_f64 v[10:11], -v[20:21], v[22:23], v[10:11]
	s_nop 1
	v_div_fmas_f64 v[10:11], v[10:11], v[30:31], v[22:23]
	ds_read2st64_b64 v[20:23], v33 offset0:1 offset1:2
	v_div_fixup_f64 v[10:11], v[10:11], v[14:15], v[26:27]
	s_waitcnt lgkmcnt(1)
	v_fma_f64 v[14:15], -v[4:5], v[16:17], v[28:29]
	v_fma_f64 v[12:13], -v[10:11], v[12:13], v[14:15]
	v_fma_f64 v[14:15], -v[4:5], v[18:19], v[24:25]
	v_mul_f64 v[4:5], v[4:5], -v[8:9]
	s_waitcnt lgkmcnt(0)
	v_fma_f64 v[14:15], -v[10:11], v[22:23], v[14:15]
	v_mul_f64 v[8:9], v[10:11], -v[20:21]
	; wave barrier
	ds_write_b64 v6, v[12:13]
	ds_write_b64 v1, v[14:15] offset:1024
	ds_write_b64 v1, v[4:5]
	ds_write_b64 v7, v[8:9]
	v_sub_u32_e64 v4, v0, 2 clamp
	v_lshlrev_b32_e32 v32, 3, v4
	s_waitcnt lgkmcnt(0)
	; wave barrier
	ds_read2_b64 v[8:11], v32 offset1:32
	ds_read_b64 v[4:5], v1
	ds_read_b64 v[24:25], v1 offset:1024
	v_add_u32_e32 v12, 2, v0
	v_min_i32_e32 v14, s0, v12
	v_lshlrev_b32_e32 v33, 3, v14
	s_waitcnt lgkmcnt(1)
	v_div_scale_f64 v[16:17], s[6:7], v[10:11], v[10:11], v[4:5]
	v_rcp_f64_e32 v[18:19], v[16:17]
	ds_read_b64 v[26:27], v7
	ds_read_b64 v[28:29], v6
	v_div_scale_f64 v[20:21], vcc, v[4:5], v[10:11], v[4:5]
	v_fma_f64 v[12:13], -v[16:17], v[18:19], 1.0
	v_fmac_f64_e32 v[18:19], v[18:19], v[12:13]
	v_fma_f64 v[12:13], -v[16:17], v[18:19], 1.0
	v_fmac_f64_e32 v[18:19], v[18:19], v[12:13]
	ds_read2_b64 v[12:15], v33 offset1:32
	v_mul_f64 v[22:23], v[20:21], v[18:19]
	v_fma_f64 v[16:17], -v[16:17], v[22:23], v[20:21]
	v_div_fmas_f64 v[16:17], v[16:17], v[18:19], v[22:23]
	v_div_fixup_f64 v[4:5], v[16:17], v[10:11], v[4:5]
	s_waitcnt lgkmcnt(0)
	v_div_scale_f64 v[20:21], s[6:7], v[14:15], v[14:15], v[26:27]
	v_rcp_f64_e32 v[30:31], v[20:21]
	ds_read2st64_b64 v[16:19], v32 offset0:1 offset1:2
	v_fma_f64 v[10:11], -v[20:21], v[30:31], 1.0
	v_fmac_f64_e32 v[30:31], v[30:31], v[10:11]
	v_fma_f64 v[10:11], -v[20:21], v[30:31], 1.0
	v_fmac_f64_e32 v[30:31], v[30:31], v[10:11]
	v_div_scale_f64 v[10:11], vcc, v[26:27], v[14:15], v[26:27]
	v_mul_f64 v[22:23], v[10:11], v[30:31]
	v_fma_f64 v[10:11], -v[20:21], v[22:23], v[10:11]
	s_nop 1
	v_div_fmas_f64 v[10:11], v[10:11], v[30:31], v[22:23]
	ds_read2st64_b64 v[20:23], v33 offset0:1 offset1:2
	v_div_fixup_f64 v[10:11], v[10:11], v[14:15], v[26:27]
	s_waitcnt lgkmcnt(1)
	v_fma_f64 v[14:15], -v[4:5], v[16:17], v[28:29]
	v_fma_f64 v[12:13], -v[10:11], v[12:13], v[14:15]
	v_fma_f64 v[14:15], -v[4:5], v[18:19], v[24:25]
	v_mul_f64 v[4:5], v[4:5], -v[8:9]
	s_waitcnt lgkmcnt(0)
	v_fma_f64 v[14:15], -v[10:11], v[22:23], v[14:15]
	v_mul_f64 v[8:9], v[10:11], -v[20:21]
	; wave barrier
	ds_write_b64 v6, v[12:13]
	ds_write_b64 v1, v[14:15] offset:1024
	ds_write_b64 v1, v[4:5]
	ds_write_b64 v7, v[8:9]
	v_sub_u32_e64 v4, v0, 4 clamp
	v_lshlrev_b32_e32 v32, 3, v4
	s_waitcnt lgkmcnt(0)
	; wave barrier
	ds_read2_b64 v[8:11], v32 offset1:32
	ds_read_b64 v[4:5], v1
	ds_read_b64 v[24:25], v1 offset:1024
	v_add_u32_e32 v12, 4, v0
	v_min_i32_e32 v14, s0, v12
	v_lshlrev_b32_e32 v33, 3, v14
	s_waitcnt lgkmcnt(1)
	v_div_scale_f64 v[16:17], s[6:7], v[10:11], v[10:11], v[4:5]
	v_rcp_f64_e32 v[18:19], v[16:17]
	ds_read_b64 v[26:27], v7
	ds_read_b64 v[28:29], v6
	v_div_scale_f64 v[20:21], vcc, v[4:5], v[10:11], v[4:5]
	v_fma_f64 v[12:13], -v[16:17], v[18:19], 1.0
	v_fmac_f64_e32 v[18:19], v[18:19], v[12:13]
	v_fma_f64 v[12:13], -v[16:17], v[18:19], 1.0
	v_fmac_f64_e32 v[18:19], v[18:19], v[12:13]
	ds_read2_b64 v[12:15], v33 offset1:32
	v_mul_f64 v[22:23], v[20:21], v[18:19]
	v_fma_f64 v[16:17], -v[16:17], v[22:23], v[20:21]
	v_div_fmas_f64 v[16:17], v[16:17], v[18:19], v[22:23]
	v_div_fixup_f64 v[4:5], v[16:17], v[10:11], v[4:5]
	s_waitcnt lgkmcnt(0)
	v_div_scale_f64 v[20:21], s[6:7], v[14:15], v[14:15], v[26:27]
	v_rcp_f64_e32 v[30:31], v[20:21]
	;; [unrolled: 53-line block ×3, first 2 shown]
	ds_read2st64_b64 v[16:19], v32 offset0:1 offset1:2
	v_fma_f64 v[10:11], -v[20:21], v[30:31], 1.0
	v_fmac_f64_e32 v[30:31], v[30:31], v[10:11]
	v_fma_f64 v[10:11], -v[20:21], v[30:31], 1.0
	v_fmac_f64_e32 v[30:31], v[30:31], v[10:11]
	v_div_scale_f64 v[10:11], vcc, v[26:27], v[14:15], v[26:27]
	v_mul_f64 v[22:23], v[10:11], v[30:31]
	v_fma_f64 v[10:11], -v[20:21], v[22:23], v[10:11]
	s_nop 1
	v_div_fmas_f64 v[10:11], v[10:11], v[30:31], v[22:23]
	ds_read2st64_b64 v[20:23], v33 offset0:1 offset1:2
	v_div_fixup_f64 v[10:11], v[10:11], v[14:15], v[26:27]
	s_waitcnt lgkmcnt(1)
	v_fma_f64 v[14:15], -v[4:5], v[16:17], v[28:29]
	v_fma_f64 v[12:13], -v[10:11], v[12:13], v[14:15]
	;; [unrolled: 1-line block ×3, first 2 shown]
	v_cmp_gt_u32_e32 vcc, 16, v0
	s_waitcnt lgkmcnt(0)
	v_fma_f64 v[14:15], -v[10:11], v[22:23], v[14:15]
	v_mul_f64 v[4:5], v[4:5], -v[8:9]
	v_mul_f64 v[8:9], v[10:11], -v[20:21]
	; wave barrier
	ds_write_b64 v6, v[12:13]
	ds_write_b64 v1, v[14:15] offset:1024
	ds_write_b64 v1, v[4:5]
	ds_write_b64 v7, v[8:9]
	s_waitcnt lgkmcnt(0)
	; wave barrier
	s_and_saveexec_b64 s[0:1], vcc
	s_cbranch_execz .LBB33_14
; %bb.9:
	v_or_b32_e32 v8, 16, v0
	v_or_b32_e32 v9, 0x400, v1
	v_cmp_le_i32_e32 vcc, s8, v8
                                        ; implicit-def: $vgpr4_vgpr5
	s_and_saveexec_b64 s[6:7], vcc
	s_xor_b64 s[6:7], exec, s[6:7]
	s_cbranch_execz .LBB33_11
; %bb.10:
	ds_read_b64 v[4:5], v9
	ds_read_b64 v[6:7], v6
	s_waitcnt lgkmcnt(0)
	v_div_scale_f64 v[8:9], s[8:9], v[6:7], v[6:7], v[4:5]
	v_rcp_f64_e32 v[10:11], v[8:9]
	v_div_scale_f64 v[12:13], vcc, v[4:5], v[6:7], v[4:5]
	v_fma_f64 v[14:15], -v[8:9], v[10:11], 1.0
	v_fmac_f64_e32 v[10:11], v[10:11], v[14:15]
	v_fma_f64 v[14:15], -v[8:9], v[10:11], 1.0
	v_fmac_f64_e32 v[10:11], v[10:11], v[14:15]
	v_mul_f64 v[14:15], v[12:13], v[10:11]
	v_fma_f64 v[8:9], -v[8:9], v[14:15], v[12:13]
	v_div_fmas_f64 v[8:9], v[8:9], v[10:11], v[14:15]
	v_div_fixup_f64 v[4:5], v[8:9], v[6:7], v[4:5]
                                        ; implicit-def: $vgpr6
                                        ; implicit-def: $vgpr7
                                        ; implicit-def: $vgpr9
                                        ; implicit-def: $vgpr8
.LBB33_11:
	s_andn2_saveexec_b64 s[6:7], s[6:7]
	s_cbranch_execz .LBB33_13
; %bb.12:
	ds_read_b64 v[14:15], v7
	ds_read_b64 v[16:17], v1 offset:128
	ds_read2_b64 v[4:7], v6 offset1:16
	v_mov_b32_e32 v0, v8
	s_waitcnt lgkmcnt(1)
	v_mul_f64 v[10:11], v[14:15], v[16:17]
	s_waitcnt lgkmcnt(0)
	v_fma_f64 v[18:19], v[6:7], v[4:5], -v[10:11]
	v_div_scale_f64 v[20:21], s[8:9], v[18:19], v[18:19], 1.0
	v_rcp_f64_e32 v[22:23], v[20:21]
	ds_read2_b64 v[10:13], v9 offset1:16
	v_div_scale_f64 v[24:25], vcc, 1.0, v[18:19], 1.0
	v_fma_f64 v[26:27], -v[20:21], v[22:23], 1.0
	v_fmac_f64_e32 v[22:23], v[22:23], v[26:27]
	v_fma_f64 v[26:27], -v[20:21], v[22:23], 1.0
	v_fmac_f64_e32 v[22:23], v[22:23], v[26:27]
	v_mul_f64 v[26:27], v[24:25], v[22:23]
	v_fma_f64 v[20:21], -v[20:21], v[26:27], v[24:25]
	v_div_fmas_f64 v[20:21], v[20:21], v[22:23], v[26:27]
	s_waitcnt lgkmcnt(0)
	v_mul_f64 v[14:15], v[14:15], v[12:13]
	v_div_fixup_f64 v[18:19], v[20:21], v[18:19], 1.0
	v_fma_f64 v[6:7], v[6:7], v[10:11], -v[14:15]
	v_mul_f64 v[6:7], v[18:19], v[6:7]
	ds_write_b64 v1, v[6:7] offset:768
	v_mul_f64 v[6:7], v[16:17], v[10:11]
	v_fma_f64 v[4:5], v[4:5], v[12:13], -v[6:7]
	v_mul_f64 v[4:5], v[18:19], v[4:5]
.LBB33_13:
	s_or_b64 exec, exec, s[6:7]
	v_lshlrev_b32_e32 v0, 3, v0
	ds_write_b64 v0, v[4:5] offset:768
.LBB33_14:
	s_or_b64 exec, exec, s[0:1]
	s_waitcnt lgkmcnt(0)
	; wave barrier
	s_and_saveexec_b64 s[0:1], s[2:3]
	s_cbranch_execz .LBB33_16
; %bb.15:
	ds_read_b64 v[0:1], v1 offset:768
	v_lshl_add_u64 v[2:3], v[2:3], 3, s[4:5]
	s_waitcnt lgkmcnt(0)
	global_store_dwordx2 v[2:3], v[0:1], off
.LBB33_16:
	s_endpgm
	.section	.rodata,"a",@progbits
	.p2align	6, 0x0
	.amdhsa_kernel _ZN9rocsparseL44gtsv_nopivot_strided_batch_pcr_shared_kernelILj32EdEEviiiPKT0_S3_S3_PS1_
		.amdhsa_group_segment_fixed_size 1280
		.amdhsa_private_segment_fixed_size 0
		.amdhsa_kernarg_size 48
		.amdhsa_user_sgpr_count 2
		.amdhsa_user_sgpr_dispatch_ptr 0
		.amdhsa_user_sgpr_queue_ptr 0
		.amdhsa_user_sgpr_kernarg_segment_ptr 1
		.amdhsa_user_sgpr_dispatch_id 0
		.amdhsa_user_sgpr_kernarg_preload_length 0
		.amdhsa_user_sgpr_kernarg_preload_offset 0
		.amdhsa_user_sgpr_private_segment_size 0
		.amdhsa_uses_dynamic_stack 0
		.amdhsa_enable_private_segment 0
		.amdhsa_system_sgpr_workgroup_id_x 1
		.amdhsa_system_sgpr_workgroup_id_y 0
		.amdhsa_system_sgpr_workgroup_id_z 0
		.amdhsa_system_sgpr_workgroup_info 0
		.amdhsa_system_vgpr_workitem_id 0
		.amdhsa_next_free_vgpr 34
		.amdhsa_next_free_sgpr 10
		.amdhsa_accum_offset 36
		.amdhsa_reserve_vcc 1
		.amdhsa_float_round_mode_32 0
		.amdhsa_float_round_mode_16_64 0
		.amdhsa_float_denorm_mode_32 3
		.amdhsa_float_denorm_mode_16_64 3
		.amdhsa_dx10_clamp 1
		.amdhsa_ieee_mode 1
		.amdhsa_fp16_overflow 0
		.amdhsa_tg_split 0
		.amdhsa_exception_fp_ieee_invalid_op 0
		.amdhsa_exception_fp_denorm_src 0
		.amdhsa_exception_fp_ieee_div_zero 0
		.amdhsa_exception_fp_ieee_overflow 0
		.amdhsa_exception_fp_ieee_underflow 0
		.amdhsa_exception_fp_ieee_inexact 0
		.amdhsa_exception_int_div_zero 0
	.end_amdhsa_kernel
	.section	.text._ZN9rocsparseL44gtsv_nopivot_strided_batch_pcr_shared_kernelILj32EdEEviiiPKT0_S3_S3_PS1_,"axG",@progbits,_ZN9rocsparseL44gtsv_nopivot_strided_batch_pcr_shared_kernelILj32EdEEviiiPKT0_S3_S3_PS1_,comdat
.Lfunc_end33:
	.size	_ZN9rocsparseL44gtsv_nopivot_strided_batch_pcr_shared_kernelILj32EdEEviiiPKT0_S3_S3_PS1_, .Lfunc_end33-_ZN9rocsparseL44gtsv_nopivot_strided_batch_pcr_shared_kernelILj32EdEEviiiPKT0_S3_S3_PS1_
                                        ; -- End function
	.set _ZN9rocsparseL44gtsv_nopivot_strided_batch_pcr_shared_kernelILj32EdEEviiiPKT0_S3_S3_PS1_.num_vgpr, 34
	.set _ZN9rocsparseL44gtsv_nopivot_strided_batch_pcr_shared_kernelILj32EdEEviiiPKT0_S3_S3_PS1_.num_agpr, 0
	.set _ZN9rocsparseL44gtsv_nopivot_strided_batch_pcr_shared_kernelILj32EdEEviiiPKT0_S3_S3_PS1_.numbered_sgpr, 10
	.set _ZN9rocsparseL44gtsv_nopivot_strided_batch_pcr_shared_kernelILj32EdEEviiiPKT0_S3_S3_PS1_.num_named_barrier, 0
	.set _ZN9rocsparseL44gtsv_nopivot_strided_batch_pcr_shared_kernelILj32EdEEviiiPKT0_S3_S3_PS1_.private_seg_size, 0
	.set _ZN9rocsparseL44gtsv_nopivot_strided_batch_pcr_shared_kernelILj32EdEEviiiPKT0_S3_S3_PS1_.uses_vcc, 1
	.set _ZN9rocsparseL44gtsv_nopivot_strided_batch_pcr_shared_kernelILj32EdEEviiiPKT0_S3_S3_PS1_.uses_flat_scratch, 0
	.set _ZN9rocsparseL44gtsv_nopivot_strided_batch_pcr_shared_kernelILj32EdEEviiiPKT0_S3_S3_PS1_.has_dyn_sized_stack, 0
	.set _ZN9rocsparseL44gtsv_nopivot_strided_batch_pcr_shared_kernelILj32EdEEviiiPKT0_S3_S3_PS1_.has_recursion, 0
	.set _ZN9rocsparseL44gtsv_nopivot_strided_batch_pcr_shared_kernelILj32EdEEviiiPKT0_S3_S3_PS1_.has_indirect_call, 0
	.section	.AMDGPU.csdata,"",@progbits
; Kernel info:
; codeLenInByte = 2072
; TotalNumSgprs: 16
; NumVgprs: 34
; NumAgprs: 0
; TotalNumVgprs: 34
; ScratchSize: 0
; MemoryBound: 0
; FloatMode: 240
; IeeeMode: 1
; LDSByteSize: 1280 bytes/workgroup (compile time only)
; SGPRBlocks: 1
; VGPRBlocks: 4
; NumSGPRsForWavesPerEU: 16
; NumVGPRsForWavesPerEU: 34
; AccumOffset: 36
; Occupancy: 8
; WaveLimiterHint : 0
; COMPUTE_PGM_RSRC2:SCRATCH_EN: 0
; COMPUTE_PGM_RSRC2:USER_SGPR: 2
; COMPUTE_PGM_RSRC2:TRAP_HANDLER: 0
; COMPUTE_PGM_RSRC2:TGID_X_EN: 1
; COMPUTE_PGM_RSRC2:TGID_Y_EN: 0
; COMPUTE_PGM_RSRC2:TGID_Z_EN: 0
; COMPUTE_PGM_RSRC2:TIDIG_COMP_CNT: 0
; COMPUTE_PGM_RSRC3_GFX90A:ACCUM_OFFSET: 8
; COMPUTE_PGM_RSRC3_GFX90A:TG_SPLIT: 0
	.section	.text._ZN9rocsparseL44gtsv_nopivot_strided_batch_pcr_shared_kernelILj64EdEEviiiPKT0_S3_S3_PS1_,"axG",@progbits,_ZN9rocsparseL44gtsv_nopivot_strided_batch_pcr_shared_kernelILj64EdEEviiiPKT0_S3_S3_PS1_,comdat
	.globl	_ZN9rocsparseL44gtsv_nopivot_strided_batch_pcr_shared_kernelILj64EdEEviiiPKT0_S3_S3_PS1_ ; -- Begin function _ZN9rocsparseL44gtsv_nopivot_strided_batch_pcr_shared_kernelILj64EdEEviiiPKT0_S3_S3_PS1_
	.p2align	8
	.type	_ZN9rocsparseL44gtsv_nopivot_strided_batch_pcr_shared_kernelILj64EdEEviiiPKT0_S3_S3_PS1_,@function
_ZN9rocsparseL44gtsv_nopivot_strided_batch_pcr_shared_kernelILj64EdEEviiiPKT0_S3_S3_PS1_: ; @_ZN9rocsparseL44gtsv_nopivot_strided_batch_pcr_shared_kernelILj64EdEEviiiPKT0_S3_S3_PS1_
; %bb.0:
	s_load_dword s3, s[0:1], 0x8
	s_load_dword s8, s[0:1], 0x0
	v_mov_b64_e32 v[4:5], 0
	v_mov_b64_e32 v[6:7], 0
	s_waitcnt lgkmcnt(0)
	s_mul_i32 s4, s3, s2
	v_add_u32_e32 v2, s4, v0
	v_cmp_gt_i32_e64 s[2:3], s8, v0
	v_ashrrev_i32_e32 v3, 31, v2
	s_and_saveexec_b64 s[4:5], s[2:3]
	s_cbranch_execz .LBB34_2
; %bb.1:
	s_load_dwordx2 s[6:7], s[0:1], 0x10
	s_waitcnt lgkmcnt(0)
	v_lshl_add_u64 v[6:7], v[2:3], 3, s[6:7]
	global_load_dwordx2 v[6:7], v[6:7], off
.LBB34_2:
	s_or_b64 exec, exec, s[4:5]
	v_lshlrev_b32_e32 v1, 3, v0
	s_waitcnt vmcnt(0)
	ds_write_b64 v1, v[6:7]
	s_and_saveexec_b64 s[4:5], s[2:3]
	s_cbranch_execz .LBB34_4
; %bb.3:
	s_load_dwordx2 s[6:7], s[0:1], 0x18
	s_waitcnt lgkmcnt(0)
	v_lshl_add_u64 v[4:5], v[2:3], 3, s[6:7]
	global_load_dwordx2 v[4:5], v[4:5], off
.LBB34_4:
	s_or_b64 exec, exec, s[4:5]
	s_load_dwordx2 s[4:5], s[0:1], 0x28
	s_waitcnt vmcnt(0)
	ds_write_b64 v1, v[4:5] offset:512
	v_mov_b64_e32 v[4:5], 0
	v_mov_b64_e32 v[8:9], 0
	s_and_saveexec_b64 s[6:7], s[2:3]
	s_cbranch_execz .LBB34_6
; %bb.5:
	s_load_dwordx2 s[0:1], s[0:1], 0x20
	s_waitcnt lgkmcnt(0)
	v_lshl_add_u64 v[6:7], v[2:3], 3, s[0:1]
	global_load_dwordx2 v[8:9], v[6:7], off
.LBB34_6:
	s_or_b64 exec, exec, s[6:7]
	v_or_b32_e32 v6, 0x200, v1
	v_or_b32_e32 v7, 0x400, v1
	s_waitcnt vmcnt(0)
	ds_write_b64 v1, v[8:9] offset:1024
	s_and_saveexec_b64 s[0:1], s[2:3]
	s_cbranch_execz .LBB34_8
; %bb.7:
	s_waitcnt lgkmcnt(0)
	v_lshl_add_u64 v[4:5], v[2:3], 3, s[4:5]
	global_load_dwordx2 v[4:5], v[4:5], off
.LBB34_8:
	s_or_b64 exec, exec, s[0:1]
	s_waitcnt vmcnt(0)
	ds_write_b64 v1, v[4:5] offset:2048
	v_sub_u32_e64 v4, v0, 1 clamp
	v_lshlrev_b32_e32 v32, 3, v4
	s_waitcnt lgkmcnt(0)
	; wave barrier
	ds_read2st64_b64 v[8:11], v32 offset1:1
	ds_read_b64 v[4:5], v1
	ds_read_b64 v[24:25], v1 offset:2048
	v_add_u32_e32 v12, 1, v0
	ds_read_b64 v[26:27], v7
	ds_read_b64 v[28:29], v6
	s_waitcnt lgkmcnt(3)
	v_div_scale_f64 v[16:17], s[0:1], v[10:11], v[10:11], v[4:5]
	v_rcp_f64_e32 v[18:19], v[16:17]
	s_add_i32 s0, s8, -1
	v_min_i32_e32 v14, s0, v12
	v_lshlrev_b32_e32 v33, 3, v14
	v_fma_f64 v[12:13], -v[16:17], v[18:19], 1.0
	v_fmac_f64_e32 v[18:19], v[18:19], v[12:13]
	v_fma_f64 v[12:13], -v[16:17], v[18:19], 1.0
	v_fmac_f64_e32 v[18:19], v[18:19], v[12:13]
	ds_read2st64_b64 v[12:15], v33 offset1:1
	v_div_scale_f64 v[20:21], vcc, v[4:5], v[10:11], v[4:5]
	v_mul_f64 v[22:23], v[20:21], v[18:19]
	v_fma_f64 v[16:17], -v[16:17], v[22:23], v[20:21]
	s_waitcnt lgkmcnt(0)
	v_div_scale_f64 v[20:21], s[6:7], v[14:15], v[14:15], v[26:27]
	v_rcp_f64_e32 v[30:31], v[20:21]
	v_div_fmas_f64 v[16:17], v[16:17], v[18:19], v[22:23]
	v_div_fixup_f64 v[4:5], v[16:17], v[10:11], v[4:5]
	ds_read2st64_b64 v[16:19], v32 offset0:2 offset1:4
	v_fma_f64 v[10:11], -v[20:21], v[30:31], 1.0
	v_fmac_f64_e32 v[30:31], v[30:31], v[10:11]
	v_fma_f64 v[10:11], -v[20:21], v[30:31], 1.0
	v_fmac_f64_e32 v[30:31], v[30:31], v[10:11]
	v_div_scale_f64 v[10:11], vcc, v[26:27], v[14:15], v[26:27]
	v_mul_f64 v[22:23], v[10:11], v[30:31]
	v_fma_f64 v[10:11], -v[20:21], v[22:23], v[10:11]
	s_nop 1
	v_div_fmas_f64 v[10:11], v[10:11], v[30:31], v[22:23]
	ds_read2st64_b64 v[20:23], v33 offset0:2 offset1:4
	v_div_fixup_f64 v[10:11], v[10:11], v[14:15], v[26:27]
	s_waitcnt lgkmcnt(1)
	v_fma_f64 v[14:15], -v[4:5], v[16:17], v[28:29]
	v_fma_f64 v[12:13], -v[10:11], v[12:13], v[14:15]
	v_fma_f64 v[14:15], -v[4:5], v[18:19], v[24:25]
	v_mul_f64 v[4:5], v[4:5], -v[8:9]
	s_waitcnt lgkmcnt(0)
	v_fma_f64 v[14:15], -v[10:11], v[22:23], v[14:15]
	v_mul_f64 v[8:9], v[10:11], -v[20:21]
	; wave barrier
	ds_write_b64 v6, v[12:13]
	ds_write_b64 v1, v[14:15] offset:2048
	ds_write_b64 v1, v[4:5]
	ds_write_b64 v7, v[8:9]
	v_sub_u32_e64 v4, v0, 2 clamp
	v_lshlrev_b32_e32 v32, 3, v4
	s_waitcnt lgkmcnt(0)
	; wave barrier
	ds_read2st64_b64 v[8:11], v32 offset1:1
	ds_read_b64 v[4:5], v1
	ds_read_b64 v[24:25], v1 offset:2048
	v_add_u32_e32 v12, 2, v0
	v_min_i32_e32 v14, s0, v12
	v_lshlrev_b32_e32 v33, 3, v14
	s_waitcnt lgkmcnt(1)
	v_div_scale_f64 v[16:17], s[6:7], v[10:11], v[10:11], v[4:5]
	v_rcp_f64_e32 v[18:19], v[16:17]
	ds_read_b64 v[26:27], v7
	ds_read_b64 v[28:29], v6
	v_div_scale_f64 v[20:21], vcc, v[4:5], v[10:11], v[4:5]
	v_fma_f64 v[12:13], -v[16:17], v[18:19], 1.0
	v_fmac_f64_e32 v[18:19], v[18:19], v[12:13]
	v_fma_f64 v[12:13], -v[16:17], v[18:19], 1.0
	v_fmac_f64_e32 v[18:19], v[18:19], v[12:13]
	ds_read2st64_b64 v[12:15], v33 offset1:1
	v_mul_f64 v[22:23], v[20:21], v[18:19]
	v_fma_f64 v[16:17], -v[16:17], v[22:23], v[20:21]
	v_div_fmas_f64 v[16:17], v[16:17], v[18:19], v[22:23]
	v_div_fixup_f64 v[4:5], v[16:17], v[10:11], v[4:5]
	s_waitcnt lgkmcnt(0)
	v_div_scale_f64 v[20:21], s[6:7], v[14:15], v[14:15], v[26:27]
	v_rcp_f64_e32 v[30:31], v[20:21]
	ds_read2st64_b64 v[16:19], v32 offset0:2 offset1:4
	v_fma_f64 v[10:11], -v[20:21], v[30:31], 1.0
	v_fmac_f64_e32 v[30:31], v[30:31], v[10:11]
	v_fma_f64 v[10:11], -v[20:21], v[30:31], 1.0
	v_fmac_f64_e32 v[30:31], v[30:31], v[10:11]
	v_div_scale_f64 v[10:11], vcc, v[26:27], v[14:15], v[26:27]
	v_mul_f64 v[22:23], v[10:11], v[30:31]
	v_fma_f64 v[10:11], -v[20:21], v[22:23], v[10:11]
	s_nop 1
	v_div_fmas_f64 v[10:11], v[10:11], v[30:31], v[22:23]
	ds_read2st64_b64 v[20:23], v33 offset0:2 offset1:4
	v_div_fixup_f64 v[10:11], v[10:11], v[14:15], v[26:27]
	s_waitcnt lgkmcnt(1)
	v_fma_f64 v[14:15], -v[4:5], v[16:17], v[28:29]
	v_fma_f64 v[12:13], -v[10:11], v[12:13], v[14:15]
	v_fma_f64 v[14:15], -v[4:5], v[18:19], v[24:25]
	v_mul_f64 v[4:5], v[4:5], -v[8:9]
	s_waitcnt lgkmcnt(0)
	v_fma_f64 v[14:15], -v[10:11], v[22:23], v[14:15]
	v_mul_f64 v[8:9], v[10:11], -v[20:21]
	; wave barrier
	ds_write_b64 v6, v[12:13]
	ds_write_b64 v1, v[14:15] offset:2048
	ds_write_b64 v1, v[4:5]
	ds_write_b64 v7, v[8:9]
	v_sub_u32_e64 v4, v0, 4 clamp
	v_lshlrev_b32_e32 v32, 3, v4
	s_waitcnt lgkmcnt(0)
	; wave barrier
	ds_read2st64_b64 v[8:11], v32 offset1:1
	ds_read_b64 v[4:5], v1
	ds_read_b64 v[24:25], v1 offset:2048
	v_add_u32_e32 v12, 4, v0
	v_min_i32_e32 v14, s0, v12
	v_lshlrev_b32_e32 v33, 3, v14
	s_waitcnt lgkmcnt(1)
	v_div_scale_f64 v[16:17], s[6:7], v[10:11], v[10:11], v[4:5]
	v_rcp_f64_e32 v[18:19], v[16:17]
	ds_read_b64 v[26:27], v7
	ds_read_b64 v[28:29], v6
	v_div_scale_f64 v[20:21], vcc, v[4:5], v[10:11], v[4:5]
	v_fma_f64 v[12:13], -v[16:17], v[18:19], 1.0
	v_fmac_f64_e32 v[18:19], v[18:19], v[12:13]
	v_fma_f64 v[12:13], -v[16:17], v[18:19], 1.0
	v_fmac_f64_e32 v[18:19], v[18:19], v[12:13]
	ds_read2st64_b64 v[12:15], v33 offset1:1
	v_mul_f64 v[22:23], v[20:21], v[18:19]
	v_fma_f64 v[16:17], -v[16:17], v[22:23], v[20:21]
	v_div_fmas_f64 v[16:17], v[16:17], v[18:19], v[22:23]
	v_div_fixup_f64 v[4:5], v[16:17], v[10:11], v[4:5]
	s_waitcnt lgkmcnt(0)
	v_div_scale_f64 v[20:21], s[6:7], v[14:15], v[14:15], v[26:27]
	v_rcp_f64_e32 v[30:31], v[20:21]
	;; [unrolled: 53-line block ×4, first 2 shown]
	ds_read2st64_b64 v[16:19], v32 offset0:2 offset1:4
	v_fma_f64 v[10:11], -v[20:21], v[30:31], 1.0
	v_fmac_f64_e32 v[30:31], v[30:31], v[10:11]
	v_fma_f64 v[10:11], -v[20:21], v[30:31], 1.0
	v_fmac_f64_e32 v[30:31], v[30:31], v[10:11]
	v_div_scale_f64 v[10:11], vcc, v[26:27], v[14:15], v[26:27]
	v_mul_f64 v[22:23], v[10:11], v[30:31]
	v_fma_f64 v[10:11], -v[20:21], v[22:23], v[10:11]
	s_nop 1
	v_div_fmas_f64 v[10:11], v[10:11], v[30:31], v[22:23]
	ds_read2st64_b64 v[20:23], v33 offset0:2 offset1:4
	v_div_fixup_f64 v[10:11], v[10:11], v[14:15], v[26:27]
	s_waitcnt lgkmcnt(1)
	v_fma_f64 v[14:15], -v[4:5], v[16:17], v[28:29]
	v_fma_f64 v[12:13], -v[10:11], v[12:13], v[14:15]
	;; [unrolled: 1-line block ×3, first 2 shown]
	v_cmp_gt_u32_e32 vcc, 32, v0
	s_waitcnt lgkmcnt(0)
	v_fma_f64 v[14:15], -v[10:11], v[22:23], v[14:15]
	v_mul_f64 v[4:5], v[4:5], -v[8:9]
	v_mul_f64 v[8:9], v[10:11], -v[20:21]
	; wave barrier
	ds_write_b64 v6, v[12:13]
	ds_write_b64 v1, v[14:15] offset:2048
	ds_write_b64 v1, v[4:5]
	ds_write_b64 v7, v[8:9]
	s_waitcnt lgkmcnt(0)
	; wave barrier
	s_and_saveexec_b64 s[0:1], vcc
	s_cbranch_execz .LBB34_14
; %bb.9:
	v_or_b32_e32 v8, 32, v0
	v_or_b32_e32 v9, 0x800, v1
	v_cmp_le_i32_e32 vcc, s8, v8
                                        ; implicit-def: $vgpr4_vgpr5
	s_and_saveexec_b64 s[6:7], vcc
	s_xor_b64 s[6:7], exec, s[6:7]
	s_cbranch_execz .LBB34_11
; %bb.10:
	ds_read_b64 v[4:5], v9
	ds_read_b64 v[6:7], v6
	s_waitcnt lgkmcnt(0)
	v_div_scale_f64 v[8:9], s[8:9], v[6:7], v[6:7], v[4:5]
	v_rcp_f64_e32 v[10:11], v[8:9]
	v_div_scale_f64 v[12:13], vcc, v[4:5], v[6:7], v[4:5]
	v_fma_f64 v[14:15], -v[8:9], v[10:11], 1.0
	v_fmac_f64_e32 v[10:11], v[10:11], v[14:15]
	v_fma_f64 v[14:15], -v[8:9], v[10:11], 1.0
	v_fmac_f64_e32 v[10:11], v[10:11], v[14:15]
	v_mul_f64 v[14:15], v[12:13], v[10:11]
	v_fma_f64 v[8:9], -v[8:9], v[14:15], v[12:13]
	v_div_fmas_f64 v[8:9], v[8:9], v[10:11], v[14:15]
	v_div_fixup_f64 v[4:5], v[8:9], v[6:7], v[4:5]
                                        ; implicit-def: $vgpr6
                                        ; implicit-def: $vgpr7
                                        ; implicit-def: $vgpr9
                                        ; implicit-def: $vgpr8
.LBB34_11:
	s_andn2_saveexec_b64 s[6:7], s[6:7]
	s_cbranch_execz .LBB34_13
; %bb.12:
	ds_read_b64 v[14:15], v7
	ds_read_b64 v[16:17], v1 offset:256
	ds_read2_b64 v[4:7], v6 offset1:32
	v_mov_b32_e32 v0, v8
	s_waitcnt lgkmcnt(1)
	v_mul_f64 v[10:11], v[14:15], v[16:17]
	s_waitcnt lgkmcnt(0)
	v_fma_f64 v[18:19], v[6:7], v[4:5], -v[10:11]
	v_div_scale_f64 v[20:21], s[8:9], v[18:19], v[18:19], 1.0
	v_rcp_f64_e32 v[22:23], v[20:21]
	ds_read2_b64 v[10:13], v9 offset1:32
	v_div_scale_f64 v[24:25], vcc, 1.0, v[18:19], 1.0
	v_fma_f64 v[26:27], -v[20:21], v[22:23], 1.0
	v_fmac_f64_e32 v[22:23], v[22:23], v[26:27]
	v_fma_f64 v[26:27], -v[20:21], v[22:23], 1.0
	v_fmac_f64_e32 v[22:23], v[22:23], v[26:27]
	v_mul_f64 v[26:27], v[24:25], v[22:23]
	v_fma_f64 v[20:21], -v[20:21], v[26:27], v[24:25]
	v_div_fmas_f64 v[20:21], v[20:21], v[22:23], v[26:27]
	s_waitcnt lgkmcnt(0)
	v_mul_f64 v[14:15], v[14:15], v[12:13]
	v_div_fixup_f64 v[18:19], v[20:21], v[18:19], 1.0
	v_fma_f64 v[6:7], v[6:7], v[10:11], -v[14:15]
	v_mul_f64 v[6:7], v[18:19], v[6:7]
	ds_write_b64 v1, v[6:7] offset:1536
	v_mul_f64 v[6:7], v[16:17], v[10:11]
	v_fma_f64 v[4:5], v[4:5], v[12:13], -v[6:7]
	v_mul_f64 v[4:5], v[18:19], v[4:5]
.LBB34_13:
	s_or_b64 exec, exec, s[6:7]
	v_lshlrev_b32_e32 v0, 3, v0
	ds_write_b64 v0, v[4:5] offset:1536
.LBB34_14:
	s_or_b64 exec, exec, s[0:1]
	s_waitcnt lgkmcnt(0)
	; wave barrier
	s_and_saveexec_b64 s[0:1], s[2:3]
	s_cbranch_execz .LBB34_16
; %bb.15:
	ds_read_b64 v[0:1], v1 offset:1536
	v_lshl_add_u64 v[2:3], v[2:3], 3, s[4:5]
	s_waitcnt lgkmcnt(0)
	global_store_dwordx2 v[2:3], v[0:1], off
.LBB34_16:
	s_endpgm
	.section	.rodata,"a",@progbits
	.p2align	6, 0x0
	.amdhsa_kernel _ZN9rocsparseL44gtsv_nopivot_strided_batch_pcr_shared_kernelILj64EdEEviiiPKT0_S3_S3_PS1_
		.amdhsa_group_segment_fixed_size 2560
		.amdhsa_private_segment_fixed_size 0
		.amdhsa_kernarg_size 48
		.amdhsa_user_sgpr_count 2
		.amdhsa_user_sgpr_dispatch_ptr 0
		.amdhsa_user_sgpr_queue_ptr 0
		.amdhsa_user_sgpr_kernarg_segment_ptr 1
		.amdhsa_user_sgpr_dispatch_id 0
		.amdhsa_user_sgpr_kernarg_preload_length 0
		.amdhsa_user_sgpr_kernarg_preload_offset 0
		.amdhsa_user_sgpr_private_segment_size 0
		.amdhsa_uses_dynamic_stack 0
		.amdhsa_enable_private_segment 0
		.amdhsa_system_sgpr_workgroup_id_x 1
		.amdhsa_system_sgpr_workgroup_id_y 0
		.amdhsa_system_sgpr_workgroup_id_z 0
		.amdhsa_system_sgpr_workgroup_info 0
		.amdhsa_system_vgpr_workitem_id 0
		.amdhsa_next_free_vgpr 34
		.amdhsa_next_free_sgpr 10
		.amdhsa_accum_offset 36
		.amdhsa_reserve_vcc 1
		.amdhsa_float_round_mode_32 0
		.amdhsa_float_round_mode_16_64 0
		.amdhsa_float_denorm_mode_32 3
		.amdhsa_float_denorm_mode_16_64 3
		.amdhsa_dx10_clamp 1
		.amdhsa_ieee_mode 1
		.amdhsa_fp16_overflow 0
		.amdhsa_tg_split 0
		.amdhsa_exception_fp_ieee_invalid_op 0
		.amdhsa_exception_fp_denorm_src 0
		.amdhsa_exception_fp_ieee_div_zero 0
		.amdhsa_exception_fp_ieee_overflow 0
		.amdhsa_exception_fp_ieee_underflow 0
		.amdhsa_exception_fp_ieee_inexact 0
		.amdhsa_exception_int_div_zero 0
	.end_amdhsa_kernel
	.section	.text._ZN9rocsparseL44gtsv_nopivot_strided_batch_pcr_shared_kernelILj64EdEEviiiPKT0_S3_S3_PS1_,"axG",@progbits,_ZN9rocsparseL44gtsv_nopivot_strided_batch_pcr_shared_kernelILj64EdEEviiiPKT0_S3_S3_PS1_,comdat
.Lfunc_end34:
	.size	_ZN9rocsparseL44gtsv_nopivot_strided_batch_pcr_shared_kernelILj64EdEEviiiPKT0_S3_S3_PS1_, .Lfunc_end34-_ZN9rocsparseL44gtsv_nopivot_strided_batch_pcr_shared_kernelILj64EdEEviiiPKT0_S3_S3_PS1_
                                        ; -- End function
	.set _ZN9rocsparseL44gtsv_nopivot_strided_batch_pcr_shared_kernelILj64EdEEviiiPKT0_S3_S3_PS1_.num_vgpr, 34
	.set _ZN9rocsparseL44gtsv_nopivot_strided_batch_pcr_shared_kernelILj64EdEEviiiPKT0_S3_S3_PS1_.num_agpr, 0
	.set _ZN9rocsparseL44gtsv_nopivot_strided_batch_pcr_shared_kernelILj64EdEEviiiPKT0_S3_S3_PS1_.numbered_sgpr, 10
	.set _ZN9rocsparseL44gtsv_nopivot_strided_batch_pcr_shared_kernelILj64EdEEviiiPKT0_S3_S3_PS1_.num_named_barrier, 0
	.set _ZN9rocsparseL44gtsv_nopivot_strided_batch_pcr_shared_kernelILj64EdEEviiiPKT0_S3_S3_PS1_.private_seg_size, 0
	.set _ZN9rocsparseL44gtsv_nopivot_strided_batch_pcr_shared_kernelILj64EdEEviiiPKT0_S3_S3_PS1_.uses_vcc, 1
	.set _ZN9rocsparseL44gtsv_nopivot_strided_batch_pcr_shared_kernelILj64EdEEviiiPKT0_S3_S3_PS1_.uses_flat_scratch, 0
	.set _ZN9rocsparseL44gtsv_nopivot_strided_batch_pcr_shared_kernelILj64EdEEviiiPKT0_S3_S3_PS1_.has_dyn_sized_stack, 0
	.set _ZN9rocsparseL44gtsv_nopivot_strided_batch_pcr_shared_kernelILj64EdEEviiiPKT0_S3_S3_PS1_.has_recursion, 0
	.set _ZN9rocsparseL44gtsv_nopivot_strided_batch_pcr_shared_kernelILj64EdEEviiiPKT0_S3_S3_PS1_.has_indirect_call, 0
	.section	.AMDGPU.csdata,"",@progbits
; Kernel info:
; codeLenInByte = 2416
; TotalNumSgprs: 16
; NumVgprs: 34
; NumAgprs: 0
; TotalNumVgprs: 34
; ScratchSize: 0
; MemoryBound: 0
; FloatMode: 240
; IeeeMode: 1
; LDSByteSize: 2560 bytes/workgroup (compile time only)
; SGPRBlocks: 1
; VGPRBlocks: 4
; NumSGPRsForWavesPerEU: 16
; NumVGPRsForWavesPerEU: 34
; AccumOffset: 36
; Occupancy: 8
; WaveLimiterHint : 0
; COMPUTE_PGM_RSRC2:SCRATCH_EN: 0
; COMPUTE_PGM_RSRC2:USER_SGPR: 2
; COMPUTE_PGM_RSRC2:TRAP_HANDLER: 0
; COMPUTE_PGM_RSRC2:TGID_X_EN: 1
; COMPUTE_PGM_RSRC2:TGID_Y_EN: 0
; COMPUTE_PGM_RSRC2:TGID_Z_EN: 0
; COMPUTE_PGM_RSRC2:TIDIG_COMP_CNT: 0
; COMPUTE_PGM_RSRC3_GFX90A:ACCUM_OFFSET: 8
; COMPUTE_PGM_RSRC3_GFX90A:TG_SPLIT: 0
	.section	.text._ZN9rocsparseL44gtsv_nopivot_strided_batch_pcr_shared_kernelILj128EdEEviiiPKT0_S3_S3_PS1_,"axG",@progbits,_ZN9rocsparseL44gtsv_nopivot_strided_batch_pcr_shared_kernelILj128EdEEviiiPKT0_S3_S3_PS1_,comdat
	.globl	_ZN9rocsparseL44gtsv_nopivot_strided_batch_pcr_shared_kernelILj128EdEEviiiPKT0_S3_S3_PS1_ ; -- Begin function _ZN9rocsparseL44gtsv_nopivot_strided_batch_pcr_shared_kernelILj128EdEEviiiPKT0_S3_S3_PS1_
	.p2align	8
	.type	_ZN9rocsparseL44gtsv_nopivot_strided_batch_pcr_shared_kernelILj128EdEEviiiPKT0_S3_S3_PS1_,@function
_ZN9rocsparseL44gtsv_nopivot_strided_batch_pcr_shared_kernelILj128EdEEviiiPKT0_S3_S3_PS1_: ; @_ZN9rocsparseL44gtsv_nopivot_strided_batch_pcr_shared_kernelILj128EdEEviiiPKT0_S3_S3_PS1_
; %bb.0:
	s_load_dword s3, s[0:1], 0x8
	s_load_dword s8, s[0:1], 0x0
	v_mov_b64_e32 v[4:5], 0
	v_mov_b64_e32 v[6:7], 0
	s_waitcnt lgkmcnt(0)
	s_mul_i32 s4, s3, s2
	v_add_u32_e32 v2, s4, v0
	v_cmp_gt_i32_e64 s[2:3], s8, v0
	v_ashrrev_i32_e32 v3, 31, v2
	s_and_saveexec_b64 s[4:5], s[2:3]
	s_cbranch_execz .LBB35_2
; %bb.1:
	s_load_dwordx2 s[6:7], s[0:1], 0x10
	s_waitcnt lgkmcnt(0)
	v_lshl_add_u64 v[6:7], v[2:3], 3, s[6:7]
	global_load_dwordx2 v[6:7], v[6:7], off
.LBB35_2:
	s_or_b64 exec, exec, s[4:5]
	v_lshlrev_b32_e32 v1, 3, v0
	s_waitcnt vmcnt(0)
	ds_write_b64 v1, v[6:7]
	s_and_saveexec_b64 s[4:5], s[2:3]
	s_cbranch_execz .LBB35_4
; %bb.3:
	s_load_dwordx2 s[6:7], s[0:1], 0x18
	s_waitcnt lgkmcnt(0)
	v_lshl_add_u64 v[4:5], v[2:3], 3, s[6:7]
	global_load_dwordx2 v[4:5], v[4:5], off
.LBB35_4:
	s_or_b64 exec, exec, s[4:5]
	s_load_dwordx2 s[4:5], s[0:1], 0x28
	s_waitcnt vmcnt(0)
	ds_write_b64 v1, v[4:5] offset:1024
	v_mov_b64_e32 v[4:5], 0
	v_mov_b64_e32 v[8:9], 0
	s_and_saveexec_b64 s[6:7], s[2:3]
	s_cbranch_execz .LBB35_6
; %bb.5:
	s_load_dwordx2 s[0:1], s[0:1], 0x20
	s_waitcnt lgkmcnt(0)
	v_lshl_add_u64 v[6:7], v[2:3], 3, s[0:1]
	global_load_dwordx2 v[8:9], v[6:7], off
.LBB35_6:
	s_or_b64 exec, exec, s[6:7]
	v_or_b32_e32 v6, 0x400, v1
	v_or_b32_e32 v7, 0x800, v1
	s_waitcnt vmcnt(0)
	ds_write_b64 v1, v[8:9] offset:2048
	s_and_saveexec_b64 s[0:1], s[2:3]
	s_cbranch_execz .LBB35_8
; %bb.7:
	s_waitcnt lgkmcnt(0)
	v_lshl_add_u64 v[4:5], v[2:3], 3, s[4:5]
	global_load_dwordx2 v[4:5], v[4:5], off
.LBB35_8:
	s_or_b64 exec, exec, s[0:1]
	s_waitcnt vmcnt(0)
	ds_write_b64 v1, v[4:5] offset:4096
	v_sub_u32_e64 v4, v0, 1 clamp
	v_lshlrev_b32_e32 v32, 3, v4
	s_waitcnt lgkmcnt(0)
	s_barrier
	ds_read2st64_b64 v[8:11], v32 offset1:2
	ds_read_b64 v[4:5], v1
	ds_read_b64 v[24:25], v7
	;; [unrolled: 1-line block ×3, first 2 shown]
	ds_read_b64 v[28:29], v1 offset:4096
	v_add_u32_e32 v12, 1, v0
	s_waitcnt lgkmcnt(3)
	v_div_scale_f64 v[16:17], s[0:1], v[10:11], v[10:11], v[4:5]
	v_rcp_f64_e32 v[18:19], v[16:17]
	s_add_i32 s0, s8, -1
	v_min_i32_e32 v14, s0, v12
	v_lshlrev_b32_e32 v33, 3, v14
	v_fma_f64 v[12:13], -v[16:17], v[18:19], 1.0
	v_fmac_f64_e32 v[18:19], v[18:19], v[12:13]
	v_fma_f64 v[12:13], -v[16:17], v[18:19], 1.0
	v_fmac_f64_e32 v[18:19], v[18:19], v[12:13]
	ds_read2st64_b64 v[12:15], v33 offset1:2
	v_div_scale_f64 v[20:21], vcc, v[4:5], v[10:11], v[4:5]
	v_mul_f64 v[22:23], v[20:21], v[18:19]
	v_fma_f64 v[16:17], -v[16:17], v[22:23], v[20:21]
	s_waitcnt lgkmcnt(0)
	v_div_scale_f64 v[20:21], s[6:7], v[14:15], v[14:15], v[24:25]
	v_rcp_f64_e32 v[30:31], v[20:21]
	v_div_fmas_f64 v[16:17], v[16:17], v[18:19], v[22:23]
	v_div_fixup_f64 v[4:5], v[16:17], v[10:11], v[4:5]
	ds_read2st64_b64 v[16:19], v32 offset0:4 offset1:8
	v_fma_f64 v[10:11], -v[20:21], v[30:31], 1.0
	v_fmac_f64_e32 v[30:31], v[30:31], v[10:11]
	v_fma_f64 v[10:11], -v[20:21], v[30:31], 1.0
	v_fmac_f64_e32 v[30:31], v[30:31], v[10:11]
	v_div_scale_f64 v[10:11], vcc, v[24:25], v[14:15], v[24:25]
	v_mul_f64 v[22:23], v[10:11], v[30:31]
	v_fma_f64 v[10:11], -v[20:21], v[22:23], v[10:11]
	s_nop 1
	v_div_fmas_f64 v[10:11], v[10:11], v[30:31], v[22:23]
	ds_read2st64_b64 v[20:23], v33 offset0:4 offset1:8
	v_div_fixup_f64 v[10:11], v[10:11], v[14:15], v[24:25]
	s_waitcnt lgkmcnt(1)
	v_fma_f64 v[14:15], -v[4:5], v[16:17], v[26:27]
	v_fma_f64 v[12:13], -v[10:11], v[12:13], v[14:15]
	v_fma_f64 v[14:15], -v[4:5], v[18:19], v[28:29]
	v_mul_f64 v[4:5], v[4:5], -v[8:9]
	s_waitcnt lgkmcnt(0)
	v_fma_f64 v[14:15], -v[10:11], v[22:23], v[14:15]
	v_mul_f64 v[8:9], v[10:11], -v[20:21]
	s_barrier
	ds_write_b64 v6, v[12:13]
	ds_write_b64 v1, v[14:15] offset:4096
	ds_write_b64 v1, v[4:5]
	ds_write_b64 v7, v[8:9]
	v_sub_u32_e64 v4, v0, 2 clamp
	v_lshlrev_b32_e32 v32, 3, v4
	s_waitcnt lgkmcnt(0)
	s_barrier
	ds_read2st64_b64 v[8:11], v32 offset1:2
	ds_read_b64 v[4:5], v1
	ds_read_b64 v[24:25], v1 offset:4096
	v_add_u32_e32 v12, 2, v0
	v_min_i32_e32 v14, s0, v12
	v_lshlrev_b32_e32 v33, 3, v14
	s_waitcnt lgkmcnt(1)
	v_div_scale_f64 v[16:17], s[6:7], v[10:11], v[10:11], v[4:5]
	v_rcp_f64_e32 v[18:19], v[16:17]
	ds_read_b64 v[26:27], v7
	ds_read_b64 v[28:29], v6
	v_div_scale_f64 v[20:21], vcc, v[4:5], v[10:11], v[4:5]
	v_fma_f64 v[12:13], -v[16:17], v[18:19], 1.0
	v_fmac_f64_e32 v[18:19], v[18:19], v[12:13]
	v_fma_f64 v[12:13], -v[16:17], v[18:19], 1.0
	v_fmac_f64_e32 v[18:19], v[18:19], v[12:13]
	ds_read2st64_b64 v[12:15], v33 offset1:2
	v_mul_f64 v[22:23], v[20:21], v[18:19]
	v_fma_f64 v[16:17], -v[16:17], v[22:23], v[20:21]
	v_div_fmas_f64 v[16:17], v[16:17], v[18:19], v[22:23]
	v_div_fixup_f64 v[4:5], v[16:17], v[10:11], v[4:5]
	s_waitcnt lgkmcnt(0)
	v_div_scale_f64 v[20:21], s[6:7], v[14:15], v[14:15], v[26:27]
	v_rcp_f64_e32 v[30:31], v[20:21]
	ds_read2st64_b64 v[16:19], v32 offset0:4 offset1:8
	v_fma_f64 v[10:11], -v[20:21], v[30:31], 1.0
	v_fmac_f64_e32 v[30:31], v[30:31], v[10:11]
	v_fma_f64 v[10:11], -v[20:21], v[30:31], 1.0
	v_fmac_f64_e32 v[30:31], v[30:31], v[10:11]
	v_div_scale_f64 v[10:11], vcc, v[26:27], v[14:15], v[26:27]
	v_mul_f64 v[22:23], v[10:11], v[30:31]
	v_fma_f64 v[10:11], -v[20:21], v[22:23], v[10:11]
	s_nop 1
	v_div_fmas_f64 v[10:11], v[10:11], v[30:31], v[22:23]
	ds_read2st64_b64 v[20:23], v33 offset0:4 offset1:8
	v_div_fixup_f64 v[10:11], v[10:11], v[14:15], v[26:27]
	s_waitcnt lgkmcnt(1)
	v_fma_f64 v[14:15], -v[4:5], v[16:17], v[28:29]
	v_fma_f64 v[12:13], -v[10:11], v[12:13], v[14:15]
	v_fma_f64 v[14:15], -v[4:5], v[18:19], v[24:25]
	v_mul_f64 v[4:5], v[4:5], -v[8:9]
	s_waitcnt lgkmcnt(0)
	v_fma_f64 v[14:15], -v[10:11], v[22:23], v[14:15]
	v_mul_f64 v[8:9], v[10:11], -v[20:21]
	s_barrier
	ds_write_b64 v6, v[12:13]
	ds_write_b64 v1, v[14:15] offset:4096
	ds_write_b64 v1, v[4:5]
	ds_write_b64 v7, v[8:9]
	v_sub_u32_e64 v4, v0, 4 clamp
	v_lshlrev_b32_e32 v32, 3, v4
	s_waitcnt lgkmcnt(0)
	s_barrier
	ds_read2st64_b64 v[8:11], v32 offset1:2
	ds_read_b64 v[4:5], v1
	ds_read_b64 v[24:25], v1 offset:4096
	v_add_u32_e32 v12, 4, v0
	v_min_i32_e32 v14, s0, v12
	v_lshlrev_b32_e32 v33, 3, v14
	s_waitcnt lgkmcnt(1)
	v_div_scale_f64 v[16:17], s[6:7], v[10:11], v[10:11], v[4:5]
	v_rcp_f64_e32 v[18:19], v[16:17]
	ds_read_b64 v[26:27], v7
	ds_read_b64 v[28:29], v6
	v_div_scale_f64 v[20:21], vcc, v[4:5], v[10:11], v[4:5]
	v_fma_f64 v[12:13], -v[16:17], v[18:19], 1.0
	v_fmac_f64_e32 v[18:19], v[18:19], v[12:13]
	v_fma_f64 v[12:13], -v[16:17], v[18:19], 1.0
	v_fmac_f64_e32 v[18:19], v[18:19], v[12:13]
	ds_read2st64_b64 v[12:15], v33 offset1:2
	v_mul_f64 v[22:23], v[20:21], v[18:19]
	v_fma_f64 v[16:17], -v[16:17], v[22:23], v[20:21]
	v_div_fmas_f64 v[16:17], v[16:17], v[18:19], v[22:23]
	v_div_fixup_f64 v[4:5], v[16:17], v[10:11], v[4:5]
	s_waitcnt lgkmcnt(0)
	v_div_scale_f64 v[20:21], s[6:7], v[14:15], v[14:15], v[26:27]
	v_rcp_f64_e32 v[30:31], v[20:21]
	;; [unrolled: 53-line block ×5, first 2 shown]
	ds_read2st64_b64 v[16:19], v32 offset0:4 offset1:8
	v_fma_f64 v[10:11], -v[20:21], v[30:31], 1.0
	v_fmac_f64_e32 v[30:31], v[30:31], v[10:11]
	v_fma_f64 v[10:11], -v[20:21], v[30:31], 1.0
	v_fmac_f64_e32 v[30:31], v[30:31], v[10:11]
	v_div_scale_f64 v[10:11], vcc, v[26:27], v[14:15], v[26:27]
	v_mul_f64 v[22:23], v[10:11], v[30:31]
	v_fma_f64 v[10:11], -v[20:21], v[22:23], v[10:11]
	s_nop 1
	v_div_fmas_f64 v[10:11], v[10:11], v[30:31], v[22:23]
	ds_read2st64_b64 v[20:23], v33 offset0:4 offset1:8
	v_div_fixup_f64 v[10:11], v[10:11], v[14:15], v[26:27]
	s_waitcnt lgkmcnt(1)
	v_fma_f64 v[14:15], -v[4:5], v[16:17], v[28:29]
	v_fma_f64 v[12:13], -v[10:11], v[12:13], v[14:15]
	v_fma_f64 v[14:15], -v[4:5], v[18:19], v[24:25]
	v_cmp_gt_u32_e32 vcc, 64, v0
	s_waitcnt lgkmcnt(0)
	v_fma_f64 v[14:15], -v[10:11], v[22:23], v[14:15]
	v_mul_f64 v[4:5], v[4:5], -v[8:9]
	v_mul_f64 v[8:9], v[10:11], -v[20:21]
	s_barrier
	ds_write_b64 v6, v[12:13]
	ds_write_b64 v1, v[14:15] offset:4096
	ds_write_b64 v1, v[4:5]
	ds_write_b64 v7, v[8:9]
	s_waitcnt lgkmcnt(0)
	s_barrier
	s_and_saveexec_b64 s[0:1], vcc
	s_cbranch_execz .LBB35_14
; %bb.9:
	v_or_b32_e32 v8, 64, v0
	v_or_b32_e32 v9, 0x1000, v1
	v_cmp_le_i32_e32 vcc, s8, v8
                                        ; implicit-def: $vgpr4_vgpr5
	s_and_saveexec_b64 s[6:7], vcc
	s_xor_b64 s[6:7], exec, s[6:7]
	s_cbranch_execz .LBB35_11
; %bb.10:
	ds_read_b64 v[4:5], v9
	ds_read_b64 v[6:7], v6
	s_waitcnt lgkmcnt(0)
	v_div_scale_f64 v[8:9], s[8:9], v[6:7], v[6:7], v[4:5]
	v_rcp_f64_e32 v[10:11], v[8:9]
	v_div_scale_f64 v[12:13], vcc, v[4:5], v[6:7], v[4:5]
	v_fma_f64 v[14:15], -v[8:9], v[10:11], 1.0
	v_fmac_f64_e32 v[10:11], v[10:11], v[14:15]
	v_fma_f64 v[14:15], -v[8:9], v[10:11], 1.0
	v_fmac_f64_e32 v[10:11], v[10:11], v[14:15]
	v_mul_f64 v[14:15], v[12:13], v[10:11]
	v_fma_f64 v[8:9], -v[8:9], v[14:15], v[12:13]
	v_div_fmas_f64 v[8:9], v[8:9], v[10:11], v[14:15]
	v_div_fixup_f64 v[4:5], v[8:9], v[6:7], v[4:5]
                                        ; implicit-def: $vgpr6
                                        ; implicit-def: $vgpr7
                                        ; implicit-def: $vgpr9
                                        ; implicit-def: $vgpr8
.LBB35_11:
	s_andn2_saveexec_b64 s[6:7], s[6:7]
	s_cbranch_execz .LBB35_13
; %bb.12:
	ds_read_b64 v[14:15], v7
	ds_read_b64 v[16:17], v1 offset:512
	ds_read2st64_b64 v[4:7], v6 offset1:1
	v_mov_b32_e32 v0, v8
	s_waitcnt lgkmcnt(1)
	v_mul_f64 v[10:11], v[14:15], v[16:17]
	s_waitcnt lgkmcnt(0)
	v_fma_f64 v[18:19], v[6:7], v[4:5], -v[10:11]
	v_div_scale_f64 v[20:21], s[8:9], v[18:19], v[18:19], 1.0
	v_rcp_f64_e32 v[22:23], v[20:21]
	ds_read2st64_b64 v[10:13], v9 offset1:1
	v_div_scale_f64 v[24:25], vcc, 1.0, v[18:19], 1.0
	v_fma_f64 v[26:27], -v[20:21], v[22:23], 1.0
	v_fmac_f64_e32 v[22:23], v[22:23], v[26:27]
	v_fma_f64 v[26:27], -v[20:21], v[22:23], 1.0
	v_fmac_f64_e32 v[22:23], v[22:23], v[26:27]
	v_mul_f64 v[26:27], v[24:25], v[22:23]
	v_fma_f64 v[20:21], -v[20:21], v[26:27], v[24:25]
	v_div_fmas_f64 v[20:21], v[20:21], v[22:23], v[26:27]
	s_waitcnt lgkmcnt(0)
	v_mul_f64 v[14:15], v[14:15], v[12:13]
	v_div_fixup_f64 v[18:19], v[20:21], v[18:19], 1.0
	v_fma_f64 v[6:7], v[6:7], v[10:11], -v[14:15]
	v_mul_f64 v[6:7], v[18:19], v[6:7]
	ds_write_b64 v1, v[6:7] offset:3072
	v_mul_f64 v[6:7], v[16:17], v[10:11]
	v_fma_f64 v[4:5], v[4:5], v[12:13], -v[6:7]
	v_mul_f64 v[4:5], v[18:19], v[4:5]
.LBB35_13:
	s_or_b64 exec, exec, s[6:7]
	v_lshlrev_b32_e32 v0, 3, v0
	ds_write_b64 v0, v[4:5] offset:3072
.LBB35_14:
	s_or_b64 exec, exec, s[0:1]
	s_waitcnt lgkmcnt(0)
	s_barrier
	s_and_saveexec_b64 s[0:1], s[2:3]
	s_cbranch_execz .LBB35_16
; %bb.15:
	ds_read_b64 v[0:1], v1 offset:3072
	v_lshl_add_u64 v[2:3], v[2:3], 3, s[4:5]
	s_waitcnt lgkmcnt(0)
	global_store_dwordx2 v[2:3], v[0:1], off
.LBB35_16:
	s_endpgm
	.section	.rodata,"a",@progbits
	.p2align	6, 0x0
	.amdhsa_kernel _ZN9rocsparseL44gtsv_nopivot_strided_batch_pcr_shared_kernelILj128EdEEviiiPKT0_S3_S3_PS1_
		.amdhsa_group_segment_fixed_size 5120
		.amdhsa_private_segment_fixed_size 0
		.amdhsa_kernarg_size 48
		.amdhsa_user_sgpr_count 2
		.amdhsa_user_sgpr_dispatch_ptr 0
		.amdhsa_user_sgpr_queue_ptr 0
		.amdhsa_user_sgpr_kernarg_segment_ptr 1
		.amdhsa_user_sgpr_dispatch_id 0
		.amdhsa_user_sgpr_kernarg_preload_length 0
		.amdhsa_user_sgpr_kernarg_preload_offset 0
		.amdhsa_user_sgpr_private_segment_size 0
		.amdhsa_uses_dynamic_stack 0
		.amdhsa_enable_private_segment 0
		.amdhsa_system_sgpr_workgroup_id_x 1
		.amdhsa_system_sgpr_workgroup_id_y 0
		.amdhsa_system_sgpr_workgroup_id_z 0
		.amdhsa_system_sgpr_workgroup_info 0
		.amdhsa_system_vgpr_workitem_id 0
		.amdhsa_next_free_vgpr 34
		.amdhsa_next_free_sgpr 10
		.amdhsa_accum_offset 36
		.amdhsa_reserve_vcc 1
		.amdhsa_float_round_mode_32 0
		.amdhsa_float_round_mode_16_64 0
		.amdhsa_float_denorm_mode_32 3
		.amdhsa_float_denorm_mode_16_64 3
		.amdhsa_dx10_clamp 1
		.amdhsa_ieee_mode 1
		.amdhsa_fp16_overflow 0
		.amdhsa_tg_split 0
		.amdhsa_exception_fp_ieee_invalid_op 0
		.amdhsa_exception_fp_denorm_src 0
		.amdhsa_exception_fp_ieee_div_zero 0
		.amdhsa_exception_fp_ieee_overflow 0
		.amdhsa_exception_fp_ieee_underflow 0
		.amdhsa_exception_fp_ieee_inexact 0
		.amdhsa_exception_int_div_zero 0
	.end_amdhsa_kernel
	.section	.text._ZN9rocsparseL44gtsv_nopivot_strided_batch_pcr_shared_kernelILj128EdEEviiiPKT0_S3_S3_PS1_,"axG",@progbits,_ZN9rocsparseL44gtsv_nopivot_strided_batch_pcr_shared_kernelILj128EdEEviiiPKT0_S3_S3_PS1_,comdat
.Lfunc_end35:
	.size	_ZN9rocsparseL44gtsv_nopivot_strided_batch_pcr_shared_kernelILj128EdEEviiiPKT0_S3_S3_PS1_, .Lfunc_end35-_ZN9rocsparseL44gtsv_nopivot_strided_batch_pcr_shared_kernelILj128EdEEviiiPKT0_S3_S3_PS1_
                                        ; -- End function
	.set _ZN9rocsparseL44gtsv_nopivot_strided_batch_pcr_shared_kernelILj128EdEEviiiPKT0_S3_S3_PS1_.num_vgpr, 34
	.set _ZN9rocsparseL44gtsv_nopivot_strided_batch_pcr_shared_kernelILj128EdEEviiiPKT0_S3_S3_PS1_.num_agpr, 0
	.set _ZN9rocsparseL44gtsv_nopivot_strided_batch_pcr_shared_kernelILj128EdEEviiiPKT0_S3_S3_PS1_.numbered_sgpr, 10
	.set _ZN9rocsparseL44gtsv_nopivot_strided_batch_pcr_shared_kernelILj128EdEEviiiPKT0_S3_S3_PS1_.num_named_barrier, 0
	.set _ZN9rocsparseL44gtsv_nopivot_strided_batch_pcr_shared_kernelILj128EdEEviiiPKT0_S3_S3_PS1_.private_seg_size, 0
	.set _ZN9rocsparseL44gtsv_nopivot_strided_batch_pcr_shared_kernelILj128EdEEviiiPKT0_S3_S3_PS1_.uses_vcc, 1
	.set _ZN9rocsparseL44gtsv_nopivot_strided_batch_pcr_shared_kernelILj128EdEEviiiPKT0_S3_S3_PS1_.uses_flat_scratch, 0
	.set _ZN9rocsparseL44gtsv_nopivot_strided_batch_pcr_shared_kernelILj128EdEEviiiPKT0_S3_S3_PS1_.has_dyn_sized_stack, 0
	.set _ZN9rocsparseL44gtsv_nopivot_strided_batch_pcr_shared_kernelILj128EdEEviiiPKT0_S3_S3_PS1_.has_recursion, 0
	.set _ZN9rocsparseL44gtsv_nopivot_strided_batch_pcr_shared_kernelILj128EdEEviiiPKT0_S3_S3_PS1_.has_indirect_call, 0
	.section	.AMDGPU.csdata,"",@progbits
; Kernel info:
; codeLenInByte = 2816
; TotalNumSgprs: 16
; NumVgprs: 34
; NumAgprs: 0
; TotalNumVgprs: 34
; ScratchSize: 0
; MemoryBound: 0
; FloatMode: 240
; IeeeMode: 1
; LDSByteSize: 5120 bytes/workgroup (compile time only)
; SGPRBlocks: 1
; VGPRBlocks: 4
; NumSGPRsForWavesPerEU: 16
; NumVGPRsForWavesPerEU: 34
; AccumOffset: 36
; Occupancy: 8
; WaveLimiterHint : 0
; COMPUTE_PGM_RSRC2:SCRATCH_EN: 0
; COMPUTE_PGM_RSRC2:USER_SGPR: 2
; COMPUTE_PGM_RSRC2:TRAP_HANDLER: 0
; COMPUTE_PGM_RSRC2:TGID_X_EN: 1
; COMPUTE_PGM_RSRC2:TGID_Y_EN: 0
; COMPUTE_PGM_RSRC2:TGID_Z_EN: 0
; COMPUTE_PGM_RSRC2:TIDIG_COMP_CNT: 0
; COMPUTE_PGM_RSRC3_GFX90A:ACCUM_OFFSET: 8
; COMPUTE_PGM_RSRC3_GFX90A:TG_SPLIT: 0
	.section	.text._ZN9rocsparseL44gtsv_nopivot_strided_batch_pcr_shared_kernelILj256EdEEviiiPKT0_S3_S3_PS1_,"axG",@progbits,_ZN9rocsparseL44gtsv_nopivot_strided_batch_pcr_shared_kernelILj256EdEEviiiPKT0_S3_S3_PS1_,comdat
	.globl	_ZN9rocsparseL44gtsv_nopivot_strided_batch_pcr_shared_kernelILj256EdEEviiiPKT0_S3_S3_PS1_ ; -- Begin function _ZN9rocsparseL44gtsv_nopivot_strided_batch_pcr_shared_kernelILj256EdEEviiiPKT0_S3_S3_PS1_
	.p2align	8
	.type	_ZN9rocsparseL44gtsv_nopivot_strided_batch_pcr_shared_kernelILj256EdEEviiiPKT0_S3_S3_PS1_,@function
_ZN9rocsparseL44gtsv_nopivot_strided_batch_pcr_shared_kernelILj256EdEEviiiPKT0_S3_S3_PS1_: ; @_ZN9rocsparseL44gtsv_nopivot_strided_batch_pcr_shared_kernelILj256EdEEviiiPKT0_S3_S3_PS1_
; %bb.0:
	s_load_dword s3, s[0:1], 0x8
	s_load_dword s8, s[0:1], 0x0
	v_mov_b64_e32 v[4:5], 0
	v_mov_b64_e32 v[6:7], 0
	s_waitcnt lgkmcnt(0)
	s_mul_i32 s4, s3, s2
	v_add_u32_e32 v2, s4, v0
	v_cmp_gt_i32_e64 s[2:3], s8, v0
	v_ashrrev_i32_e32 v3, 31, v2
	s_and_saveexec_b64 s[4:5], s[2:3]
	s_cbranch_execz .LBB36_2
; %bb.1:
	s_load_dwordx2 s[6:7], s[0:1], 0x10
	s_waitcnt lgkmcnt(0)
	v_lshl_add_u64 v[6:7], v[2:3], 3, s[6:7]
	global_load_dwordx2 v[6:7], v[6:7], off
.LBB36_2:
	s_or_b64 exec, exec, s[4:5]
	v_lshlrev_b32_e32 v1, 3, v0
	s_waitcnt vmcnt(0)
	ds_write_b64 v1, v[6:7]
	s_and_saveexec_b64 s[4:5], s[2:3]
	s_cbranch_execz .LBB36_4
; %bb.3:
	s_load_dwordx2 s[6:7], s[0:1], 0x18
	s_waitcnt lgkmcnt(0)
	v_lshl_add_u64 v[4:5], v[2:3], 3, s[6:7]
	global_load_dwordx2 v[4:5], v[4:5], off
.LBB36_4:
	s_or_b64 exec, exec, s[4:5]
	s_load_dwordx2 s[4:5], s[0:1], 0x28
	s_waitcnt vmcnt(0)
	ds_write_b64 v1, v[4:5] offset:2048
	v_mov_b64_e32 v[4:5], 0
	v_mov_b64_e32 v[8:9], 0
	s_and_saveexec_b64 s[6:7], s[2:3]
	s_cbranch_execz .LBB36_6
; %bb.5:
	s_load_dwordx2 s[0:1], s[0:1], 0x20
	s_waitcnt lgkmcnt(0)
	v_lshl_add_u64 v[6:7], v[2:3], 3, s[0:1]
	global_load_dwordx2 v[8:9], v[6:7], off
.LBB36_6:
	s_or_b64 exec, exec, s[6:7]
	v_or_b32_e32 v6, 0x800, v1
	v_or_b32_e32 v7, 0x1000, v1
	s_waitcnt vmcnt(0)
	ds_write_b64 v1, v[8:9] offset:4096
	s_and_saveexec_b64 s[0:1], s[2:3]
	s_cbranch_execz .LBB36_8
; %bb.7:
	s_waitcnt lgkmcnt(0)
	v_lshl_add_u64 v[4:5], v[2:3], 3, s[4:5]
	global_load_dwordx2 v[4:5], v[4:5], off
.LBB36_8:
	s_or_b64 exec, exec, s[0:1]
	s_waitcnt vmcnt(0)
	ds_write_b64 v1, v[4:5] offset:8192
	v_sub_u32_e64 v4, v0, 1 clamp
	v_lshlrev_b32_e32 v32, 3, v4
	s_waitcnt lgkmcnt(0)
	s_barrier
	ds_read2st64_b64 v[8:11], v32 offset1:4
	ds_read_b64 v[4:5], v1
	ds_read_b64 v[24:25], v7
	;; [unrolled: 1-line block ×3, first 2 shown]
	ds_read_b64 v[28:29], v1 offset:8192
	v_add_u32_e32 v12, 1, v0
	s_waitcnt lgkmcnt(3)
	v_div_scale_f64 v[16:17], s[0:1], v[10:11], v[10:11], v[4:5]
	v_rcp_f64_e32 v[18:19], v[16:17]
	s_add_i32 s0, s8, -1
	v_min_i32_e32 v14, s0, v12
	v_lshlrev_b32_e32 v33, 3, v14
	v_fma_f64 v[12:13], -v[16:17], v[18:19], 1.0
	v_fmac_f64_e32 v[18:19], v[18:19], v[12:13]
	v_fma_f64 v[12:13], -v[16:17], v[18:19], 1.0
	v_fmac_f64_e32 v[18:19], v[18:19], v[12:13]
	ds_read2st64_b64 v[12:15], v33 offset1:4
	v_div_scale_f64 v[20:21], vcc, v[4:5], v[10:11], v[4:5]
	v_mul_f64 v[22:23], v[20:21], v[18:19]
	v_fma_f64 v[16:17], -v[16:17], v[22:23], v[20:21]
	s_waitcnt lgkmcnt(0)
	v_div_scale_f64 v[20:21], s[6:7], v[14:15], v[14:15], v[24:25]
	v_rcp_f64_e32 v[30:31], v[20:21]
	v_div_fmas_f64 v[16:17], v[16:17], v[18:19], v[22:23]
	v_div_fixup_f64 v[4:5], v[16:17], v[10:11], v[4:5]
	ds_read2st64_b64 v[16:19], v32 offset0:8 offset1:16
	v_fma_f64 v[10:11], -v[20:21], v[30:31], 1.0
	v_fmac_f64_e32 v[30:31], v[30:31], v[10:11]
	v_fma_f64 v[10:11], -v[20:21], v[30:31], 1.0
	v_fmac_f64_e32 v[30:31], v[30:31], v[10:11]
	v_div_scale_f64 v[10:11], vcc, v[24:25], v[14:15], v[24:25]
	v_mul_f64 v[22:23], v[10:11], v[30:31]
	v_fma_f64 v[10:11], -v[20:21], v[22:23], v[10:11]
	s_nop 1
	v_div_fmas_f64 v[10:11], v[10:11], v[30:31], v[22:23]
	ds_read2st64_b64 v[20:23], v33 offset0:8 offset1:16
	v_div_fixup_f64 v[10:11], v[10:11], v[14:15], v[24:25]
	s_waitcnt lgkmcnt(1)
	v_fma_f64 v[14:15], -v[4:5], v[16:17], v[26:27]
	v_fma_f64 v[12:13], -v[10:11], v[12:13], v[14:15]
	v_fma_f64 v[14:15], -v[4:5], v[18:19], v[28:29]
	v_mul_f64 v[4:5], v[4:5], -v[8:9]
	s_waitcnt lgkmcnt(0)
	v_fma_f64 v[14:15], -v[10:11], v[22:23], v[14:15]
	v_mul_f64 v[8:9], v[10:11], -v[20:21]
	s_barrier
	ds_write_b64 v6, v[12:13]
	ds_write_b64 v1, v[14:15] offset:8192
	ds_write_b64 v1, v[4:5]
	ds_write_b64 v7, v[8:9]
	v_sub_u32_e64 v4, v0, 2 clamp
	v_lshlrev_b32_e32 v32, 3, v4
	s_waitcnt lgkmcnt(0)
	s_barrier
	ds_read2st64_b64 v[8:11], v32 offset1:4
	ds_read_b64 v[4:5], v1
	ds_read_b64 v[24:25], v1 offset:8192
	v_add_u32_e32 v12, 2, v0
	v_min_i32_e32 v14, s0, v12
	v_lshlrev_b32_e32 v33, 3, v14
	s_waitcnt lgkmcnt(1)
	v_div_scale_f64 v[16:17], s[6:7], v[10:11], v[10:11], v[4:5]
	v_rcp_f64_e32 v[18:19], v[16:17]
	ds_read_b64 v[26:27], v7
	ds_read_b64 v[28:29], v6
	v_div_scale_f64 v[20:21], vcc, v[4:5], v[10:11], v[4:5]
	v_fma_f64 v[12:13], -v[16:17], v[18:19], 1.0
	v_fmac_f64_e32 v[18:19], v[18:19], v[12:13]
	v_fma_f64 v[12:13], -v[16:17], v[18:19], 1.0
	v_fmac_f64_e32 v[18:19], v[18:19], v[12:13]
	ds_read2st64_b64 v[12:15], v33 offset1:4
	v_mul_f64 v[22:23], v[20:21], v[18:19]
	v_fma_f64 v[16:17], -v[16:17], v[22:23], v[20:21]
	v_div_fmas_f64 v[16:17], v[16:17], v[18:19], v[22:23]
	v_div_fixup_f64 v[4:5], v[16:17], v[10:11], v[4:5]
	s_waitcnt lgkmcnt(0)
	v_div_scale_f64 v[20:21], s[6:7], v[14:15], v[14:15], v[26:27]
	v_rcp_f64_e32 v[30:31], v[20:21]
	ds_read2st64_b64 v[16:19], v32 offset0:8 offset1:16
	v_fma_f64 v[10:11], -v[20:21], v[30:31], 1.0
	v_fmac_f64_e32 v[30:31], v[30:31], v[10:11]
	v_fma_f64 v[10:11], -v[20:21], v[30:31], 1.0
	v_fmac_f64_e32 v[30:31], v[30:31], v[10:11]
	v_div_scale_f64 v[10:11], vcc, v[26:27], v[14:15], v[26:27]
	v_mul_f64 v[22:23], v[10:11], v[30:31]
	v_fma_f64 v[10:11], -v[20:21], v[22:23], v[10:11]
	s_nop 1
	v_div_fmas_f64 v[10:11], v[10:11], v[30:31], v[22:23]
	ds_read2st64_b64 v[20:23], v33 offset0:8 offset1:16
	v_div_fixup_f64 v[10:11], v[10:11], v[14:15], v[26:27]
	s_waitcnt lgkmcnt(1)
	v_fma_f64 v[14:15], -v[4:5], v[16:17], v[28:29]
	v_fma_f64 v[12:13], -v[10:11], v[12:13], v[14:15]
	v_fma_f64 v[14:15], -v[4:5], v[18:19], v[24:25]
	v_mul_f64 v[4:5], v[4:5], -v[8:9]
	s_waitcnt lgkmcnt(0)
	v_fma_f64 v[14:15], -v[10:11], v[22:23], v[14:15]
	v_mul_f64 v[8:9], v[10:11], -v[20:21]
	s_barrier
	ds_write_b64 v6, v[12:13]
	ds_write_b64 v1, v[14:15] offset:8192
	ds_write_b64 v1, v[4:5]
	ds_write_b64 v7, v[8:9]
	v_sub_u32_e64 v4, v0, 4 clamp
	v_lshlrev_b32_e32 v32, 3, v4
	s_waitcnt lgkmcnt(0)
	s_barrier
	ds_read2st64_b64 v[8:11], v32 offset1:4
	ds_read_b64 v[4:5], v1
	ds_read_b64 v[24:25], v1 offset:8192
	v_add_u32_e32 v12, 4, v0
	v_min_i32_e32 v14, s0, v12
	v_lshlrev_b32_e32 v33, 3, v14
	s_waitcnt lgkmcnt(1)
	v_div_scale_f64 v[16:17], s[6:7], v[10:11], v[10:11], v[4:5]
	v_rcp_f64_e32 v[18:19], v[16:17]
	ds_read_b64 v[26:27], v7
	ds_read_b64 v[28:29], v6
	v_div_scale_f64 v[20:21], vcc, v[4:5], v[10:11], v[4:5]
	v_fma_f64 v[12:13], -v[16:17], v[18:19], 1.0
	v_fmac_f64_e32 v[18:19], v[18:19], v[12:13]
	v_fma_f64 v[12:13], -v[16:17], v[18:19], 1.0
	v_fmac_f64_e32 v[18:19], v[18:19], v[12:13]
	ds_read2st64_b64 v[12:15], v33 offset1:4
	v_mul_f64 v[22:23], v[20:21], v[18:19]
	v_fma_f64 v[16:17], -v[16:17], v[22:23], v[20:21]
	v_div_fmas_f64 v[16:17], v[16:17], v[18:19], v[22:23]
	v_div_fixup_f64 v[4:5], v[16:17], v[10:11], v[4:5]
	s_waitcnt lgkmcnt(0)
	v_div_scale_f64 v[20:21], s[6:7], v[14:15], v[14:15], v[26:27]
	v_rcp_f64_e32 v[30:31], v[20:21]
	;; [unrolled: 53-line block ×6, first 2 shown]
	ds_read2st64_b64 v[16:19], v32 offset0:8 offset1:16
	s_movk_i32 s0, 0x80
	v_fma_f64 v[10:11], -v[20:21], v[30:31], 1.0
	v_fmac_f64_e32 v[30:31], v[30:31], v[10:11]
	v_fma_f64 v[10:11], -v[20:21], v[30:31], 1.0
	v_fmac_f64_e32 v[30:31], v[30:31], v[10:11]
	v_div_scale_f64 v[10:11], vcc, v[26:27], v[14:15], v[26:27]
	v_mul_f64 v[22:23], v[10:11], v[30:31]
	v_fma_f64 v[10:11], -v[20:21], v[22:23], v[10:11]
	s_nop 1
	v_div_fmas_f64 v[10:11], v[10:11], v[30:31], v[22:23]
	ds_read2st64_b64 v[20:23], v33 offset0:8 offset1:16
	v_div_fixup_f64 v[10:11], v[10:11], v[14:15], v[26:27]
	s_waitcnt lgkmcnt(1)
	v_fma_f64 v[14:15], -v[4:5], v[16:17], v[28:29]
	v_fma_f64 v[12:13], -v[10:11], v[12:13], v[14:15]
	;; [unrolled: 1-line block ×3, first 2 shown]
	v_cmp_gt_u32_e32 vcc, s0, v0
	s_waitcnt lgkmcnt(0)
	v_fma_f64 v[14:15], -v[10:11], v[22:23], v[14:15]
	v_mul_f64 v[4:5], v[4:5], -v[8:9]
	v_mul_f64 v[8:9], v[10:11], -v[20:21]
	s_barrier
	ds_write_b64 v6, v[12:13]
	ds_write_b64 v1, v[14:15] offset:8192
	ds_write_b64 v1, v[4:5]
	ds_write_b64 v7, v[8:9]
	s_waitcnt lgkmcnt(0)
	s_barrier
	s_and_saveexec_b64 s[0:1], vcc
	s_cbranch_execz .LBB36_14
; %bb.9:
	v_or_b32_e32 v8, 0x80, v0
	v_or_b32_e32 v9, 0x2000, v1
	v_cmp_le_i32_e32 vcc, s8, v8
                                        ; implicit-def: $vgpr4_vgpr5
	s_and_saveexec_b64 s[6:7], vcc
	s_xor_b64 s[6:7], exec, s[6:7]
	s_cbranch_execz .LBB36_11
; %bb.10:
	ds_read_b64 v[4:5], v9
	ds_read_b64 v[6:7], v6
	s_waitcnt lgkmcnt(0)
	v_div_scale_f64 v[8:9], s[8:9], v[6:7], v[6:7], v[4:5]
	v_rcp_f64_e32 v[10:11], v[8:9]
	v_div_scale_f64 v[12:13], vcc, v[4:5], v[6:7], v[4:5]
	v_fma_f64 v[14:15], -v[8:9], v[10:11], 1.0
	v_fmac_f64_e32 v[10:11], v[10:11], v[14:15]
	v_fma_f64 v[14:15], -v[8:9], v[10:11], 1.0
	v_fmac_f64_e32 v[10:11], v[10:11], v[14:15]
	v_mul_f64 v[14:15], v[12:13], v[10:11]
	v_fma_f64 v[8:9], -v[8:9], v[14:15], v[12:13]
	v_div_fmas_f64 v[8:9], v[8:9], v[10:11], v[14:15]
	v_div_fixup_f64 v[4:5], v[8:9], v[6:7], v[4:5]
                                        ; implicit-def: $vgpr6
                                        ; implicit-def: $vgpr7
                                        ; implicit-def: $vgpr9
                                        ; implicit-def: $vgpr8
.LBB36_11:
	s_andn2_saveexec_b64 s[6:7], s[6:7]
	s_cbranch_execz .LBB36_13
; %bb.12:
	ds_read_b64 v[14:15], v7
	ds_read_b64 v[16:17], v1 offset:1024
	ds_read2st64_b64 v[4:7], v6 offset1:2
	v_mov_b32_e32 v0, v8
	s_waitcnt lgkmcnt(1)
	v_mul_f64 v[10:11], v[14:15], v[16:17]
	s_waitcnt lgkmcnt(0)
	v_fma_f64 v[18:19], v[6:7], v[4:5], -v[10:11]
	v_div_scale_f64 v[20:21], s[8:9], v[18:19], v[18:19], 1.0
	v_rcp_f64_e32 v[22:23], v[20:21]
	ds_read2st64_b64 v[10:13], v9 offset1:2
	v_div_scale_f64 v[24:25], vcc, 1.0, v[18:19], 1.0
	v_fma_f64 v[26:27], -v[20:21], v[22:23], 1.0
	v_fmac_f64_e32 v[22:23], v[22:23], v[26:27]
	v_fma_f64 v[26:27], -v[20:21], v[22:23], 1.0
	v_fmac_f64_e32 v[22:23], v[22:23], v[26:27]
	v_mul_f64 v[26:27], v[24:25], v[22:23]
	v_fma_f64 v[20:21], -v[20:21], v[26:27], v[24:25]
	v_div_fmas_f64 v[20:21], v[20:21], v[22:23], v[26:27]
	s_waitcnt lgkmcnt(0)
	v_mul_f64 v[14:15], v[14:15], v[12:13]
	v_div_fixup_f64 v[18:19], v[20:21], v[18:19], 1.0
	v_fma_f64 v[6:7], v[6:7], v[10:11], -v[14:15]
	v_mul_f64 v[6:7], v[18:19], v[6:7]
	ds_write_b64 v1, v[6:7] offset:6144
	v_mul_f64 v[6:7], v[16:17], v[10:11]
	v_fma_f64 v[4:5], v[4:5], v[12:13], -v[6:7]
	v_mul_f64 v[4:5], v[18:19], v[4:5]
.LBB36_13:
	s_or_b64 exec, exec, s[6:7]
	v_lshlrev_b32_e32 v0, 3, v0
	ds_write_b64 v0, v[4:5] offset:6144
.LBB36_14:
	s_or_b64 exec, exec, s[0:1]
	s_waitcnt lgkmcnt(0)
	s_barrier
	s_and_saveexec_b64 s[0:1], s[2:3]
	s_cbranch_execz .LBB36_16
; %bb.15:
	ds_read_b64 v[0:1], v1 offset:6144
	v_lshl_add_u64 v[2:3], v[2:3], 3, s[4:5]
	s_waitcnt lgkmcnt(0)
	global_store_dwordx2 v[2:3], v[0:1], off
.LBB36_16:
	s_endpgm
	.section	.rodata,"a",@progbits
	.p2align	6, 0x0
	.amdhsa_kernel _ZN9rocsparseL44gtsv_nopivot_strided_batch_pcr_shared_kernelILj256EdEEviiiPKT0_S3_S3_PS1_
		.amdhsa_group_segment_fixed_size 10240
		.amdhsa_private_segment_fixed_size 0
		.amdhsa_kernarg_size 48
		.amdhsa_user_sgpr_count 2
		.amdhsa_user_sgpr_dispatch_ptr 0
		.amdhsa_user_sgpr_queue_ptr 0
		.amdhsa_user_sgpr_kernarg_segment_ptr 1
		.amdhsa_user_sgpr_dispatch_id 0
		.amdhsa_user_sgpr_kernarg_preload_length 0
		.amdhsa_user_sgpr_kernarg_preload_offset 0
		.amdhsa_user_sgpr_private_segment_size 0
		.amdhsa_uses_dynamic_stack 0
		.amdhsa_enable_private_segment 0
		.amdhsa_system_sgpr_workgroup_id_x 1
		.amdhsa_system_sgpr_workgroup_id_y 0
		.amdhsa_system_sgpr_workgroup_id_z 0
		.amdhsa_system_sgpr_workgroup_info 0
		.amdhsa_system_vgpr_workitem_id 0
		.amdhsa_next_free_vgpr 34
		.amdhsa_next_free_sgpr 10
		.amdhsa_accum_offset 36
		.amdhsa_reserve_vcc 1
		.amdhsa_float_round_mode_32 0
		.amdhsa_float_round_mode_16_64 0
		.amdhsa_float_denorm_mode_32 3
		.amdhsa_float_denorm_mode_16_64 3
		.amdhsa_dx10_clamp 1
		.amdhsa_ieee_mode 1
		.amdhsa_fp16_overflow 0
		.amdhsa_tg_split 0
		.amdhsa_exception_fp_ieee_invalid_op 0
		.amdhsa_exception_fp_denorm_src 0
		.amdhsa_exception_fp_ieee_div_zero 0
		.amdhsa_exception_fp_ieee_overflow 0
		.amdhsa_exception_fp_ieee_underflow 0
		.amdhsa_exception_fp_ieee_inexact 0
		.amdhsa_exception_int_div_zero 0
	.end_amdhsa_kernel
	.section	.text._ZN9rocsparseL44gtsv_nopivot_strided_batch_pcr_shared_kernelILj256EdEEviiiPKT0_S3_S3_PS1_,"axG",@progbits,_ZN9rocsparseL44gtsv_nopivot_strided_batch_pcr_shared_kernelILj256EdEEviiiPKT0_S3_S3_PS1_,comdat
.Lfunc_end36:
	.size	_ZN9rocsparseL44gtsv_nopivot_strided_batch_pcr_shared_kernelILj256EdEEviiiPKT0_S3_S3_PS1_, .Lfunc_end36-_ZN9rocsparseL44gtsv_nopivot_strided_batch_pcr_shared_kernelILj256EdEEviiiPKT0_S3_S3_PS1_
                                        ; -- End function
	.set _ZN9rocsparseL44gtsv_nopivot_strided_batch_pcr_shared_kernelILj256EdEEviiiPKT0_S3_S3_PS1_.num_vgpr, 34
	.set _ZN9rocsparseL44gtsv_nopivot_strided_batch_pcr_shared_kernelILj256EdEEviiiPKT0_S3_S3_PS1_.num_agpr, 0
	.set _ZN9rocsparseL44gtsv_nopivot_strided_batch_pcr_shared_kernelILj256EdEEviiiPKT0_S3_S3_PS1_.numbered_sgpr, 10
	.set _ZN9rocsparseL44gtsv_nopivot_strided_batch_pcr_shared_kernelILj256EdEEviiiPKT0_S3_S3_PS1_.num_named_barrier, 0
	.set _ZN9rocsparseL44gtsv_nopivot_strided_batch_pcr_shared_kernelILj256EdEEviiiPKT0_S3_S3_PS1_.private_seg_size, 0
	.set _ZN9rocsparseL44gtsv_nopivot_strided_batch_pcr_shared_kernelILj256EdEEviiiPKT0_S3_S3_PS1_.uses_vcc, 1
	.set _ZN9rocsparseL44gtsv_nopivot_strided_batch_pcr_shared_kernelILj256EdEEviiiPKT0_S3_S3_PS1_.uses_flat_scratch, 0
	.set _ZN9rocsparseL44gtsv_nopivot_strided_batch_pcr_shared_kernelILj256EdEEviiiPKT0_S3_S3_PS1_.has_dyn_sized_stack, 0
	.set _ZN9rocsparseL44gtsv_nopivot_strided_batch_pcr_shared_kernelILj256EdEEviiiPKT0_S3_S3_PS1_.has_recursion, 0
	.set _ZN9rocsparseL44gtsv_nopivot_strided_batch_pcr_shared_kernelILj256EdEEviiiPKT0_S3_S3_PS1_.has_indirect_call, 0
	.section	.AMDGPU.csdata,"",@progbits
; Kernel info:
; codeLenInByte = 3176
; TotalNumSgprs: 16
; NumVgprs: 34
; NumAgprs: 0
; TotalNumVgprs: 34
; ScratchSize: 0
; MemoryBound: 1
; FloatMode: 240
; IeeeMode: 1
; LDSByteSize: 10240 bytes/workgroup (compile time only)
; SGPRBlocks: 1
; VGPRBlocks: 4
; NumSGPRsForWavesPerEU: 16
; NumVGPRsForWavesPerEU: 34
; AccumOffset: 36
; Occupancy: 8
; WaveLimiterHint : 1
; COMPUTE_PGM_RSRC2:SCRATCH_EN: 0
; COMPUTE_PGM_RSRC2:USER_SGPR: 2
; COMPUTE_PGM_RSRC2:TRAP_HANDLER: 0
; COMPUTE_PGM_RSRC2:TGID_X_EN: 1
; COMPUTE_PGM_RSRC2:TGID_Y_EN: 0
; COMPUTE_PGM_RSRC2:TGID_Z_EN: 0
; COMPUTE_PGM_RSRC2:TIDIG_COMP_CNT: 0
; COMPUTE_PGM_RSRC3_GFX90A:ACCUM_OFFSET: 8
; COMPUTE_PGM_RSRC3_GFX90A:TG_SPLIT: 0
	.section	.text._ZN9rocsparseL44gtsv_nopivot_strided_batch_pcr_shared_kernelILj512EdEEviiiPKT0_S3_S3_PS1_,"axG",@progbits,_ZN9rocsparseL44gtsv_nopivot_strided_batch_pcr_shared_kernelILj512EdEEviiiPKT0_S3_S3_PS1_,comdat
	.globl	_ZN9rocsparseL44gtsv_nopivot_strided_batch_pcr_shared_kernelILj512EdEEviiiPKT0_S3_S3_PS1_ ; -- Begin function _ZN9rocsparseL44gtsv_nopivot_strided_batch_pcr_shared_kernelILj512EdEEviiiPKT0_S3_S3_PS1_
	.p2align	8
	.type	_ZN9rocsparseL44gtsv_nopivot_strided_batch_pcr_shared_kernelILj512EdEEviiiPKT0_S3_S3_PS1_,@function
_ZN9rocsparseL44gtsv_nopivot_strided_batch_pcr_shared_kernelILj512EdEEviiiPKT0_S3_S3_PS1_: ; @_ZN9rocsparseL44gtsv_nopivot_strided_batch_pcr_shared_kernelILj512EdEEviiiPKT0_S3_S3_PS1_
; %bb.0:
	s_load_dword s3, s[0:1], 0x8
	s_load_dword s8, s[0:1], 0x0
	v_mov_b64_e32 v[4:5], 0
	v_mov_b64_e32 v[6:7], 0
	s_waitcnt lgkmcnt(0)
	s_mul_i32 s4, s3, s2
	v_add_u32_e32 v2, s4, v0
	v_cmp_gt_i32_e64 s[2:3], s8, v0
	v_ashrrev_i32_e32 v3, 31, v2
	s_and_saveexec_b64 s[4:5], s[2:3]
	s_cbranch_execz .LBB37_2
; %bb.1:
	s_load_dwordx2 s[6:7], s[0:1], 0x10
	s_waitcnt lgkmcnt(0)
	v_lshl_add_u64 v[6:7], v[2:3], 3, s[6:7]
	global_load_dwordx2 v[6:7], v[6:7], off
.LBB37_2:
	s_or_b64 exec, exec, s[4:5]
	v_lshlrev_b32_e32 v1, 3, v0
	s_waitcnt vmcnt(0)
	ds_write_b64 v1, v[6:7]
	s_and_saveexec_b64 s[4:5], s[2:3]
	s_cbranch_execz .LBB37_4
; %bb.3:
	s_load_dwordx2 s[6:7], s[0:1], 0x18
	s_waitcnt lgkmcnt(0)
	v_lshl_add_u64 v[4:5], v[2:3], 3, s[6:7]
	global_load_dwordx2 v[4:5], v[4:5], off
.LBB37_4:
	s_or_b64 exec, exec, s[4:5]
	s_load_dwordx2 s[4:5], s[0:1], 0x28
	s_waitcnt vmcnt(0)
	ds_write_b64 v1, v[4:5] offset:4096
	v_mov_b64_e32 v[4:5], 0
	v_mov_b64_e32 v[6:7], 0
	s_and_saveexec_b64 s[6:7], s[2:3]
	s_cbranch_execz .LBB37_6
; %bb.5:
	s_load_dwordx2 s[0:1], s[0:1], 0x20
	s_waitcnt lgkmcnt(0)
	v_lshl_add_u64 v[6:7], v[2:3], 3, s[0:1]
	global_load_dwordx2 v[6:7], v[6:7], off
.LBB37_6:
	s_or_b64 exec, exec, s[6:7]
	v_or_b32_e32 v8, 0x1000, v1
	v_or_b32_e32 v9, 0x2000, v1
	s_waitcnt vmcnt(0)
	ds_write_b64 v1, v[6:7] offset:8192
	s_and_saveexec_b64 s[0:1], s[2:3]
	s_cbranch_execz .LBB37_8
; %bb.7:
	s_waitcnt lgkmcnt(0)
	v_lshl_add_u64 v[4:5], v[2:3], 3, s[4:5]
	global_load_dwordx2 v[4:5], v[4:5], off
.LBB37_8:
	s_or_b64 exec, exec, s[0:1]
	s_waitcnt vmcnt(0)
	ds_write_b64 v1, v[4:5] offset:16384
	v_sub_u32_e64 v4, v0, 1 clamp
	v_lshlrev_b32_e32 v32, 3, v4
	s_waitcnt lgkmcnt(0)
	s_barrier
	ds_read2st64_b64 v[4:7], v32 offset1:8
	ds_read_b64 v[14:15], v1
	ds_read_b64 v[22:23], v9
	;; [unrolled: 1-line block ×3, first 2 shown]
	ds_read_b64 v[26:27], v1 offset:16384
	v_add_u32_e32 v10, 1, v0
	s_waitcnt lgkmcnt(3)
	v_div_scale_f64 v[16:17], s[0:1], v[6:7], v[6:7], v[14:15]
	v_rcp_f64_e32 v[18:19], v[16:17]
	s_add_i32 s0, s8, -1
	v_min_i32_e32 v12, s0, v10
	v_lshlrev_b32_e32 v33, 3, v12
	v_fma_f64 v[10:11], -v[16:17], v[18:19], 1.0
	v_fmac_f64_e32 v[18:19], v[18:19], v[10:11]
	v_fma_f64 v[10:11], -v[16:17], v[18:19], 1.0
	v_fmac_f64_e32 v[18:19], v[18:19], v[10:11]
	ds_read2st64_b64 v[10:13], v33 offset1:8
	v_div_scale_f64 v[20:21], vcc, v[14:15], v[6:7], v[14:15]
	v_mul_f64 v[28:29], v[20:21], v[18:19]
	v_fma_f64 v[16:17], -v[16:17], v[28:29], v[20:21]
	s_waitcnt lgkmcnt(0)
	v_div_scale_f64 v[20:21], s[6:7], v[12:13], v[12:13], v[22:23]
	v_rcp_f64_e32 v[30:31], v[20:21]
	v_div_fmas_f64 v[16:17], v[16:17], v[18:19], v[28:29]
	v_div_fixup_f64 v[6:7], v[16:17], v[6:7], v[14:15]
	v_mul_f64 v[4:5], v[6:7], -v[4:5]
	v_fma_f64 v[14:15], -v[20:21], v[30:31], 1.0
	v_fmac_f64_e32 v[30:31], v[30:31], v[14:15]
	v_fma_f64 v[14:15], -v[20:21], v[30:31], 1.0
	v_fmac_f64_e32 v[30:31], v[30:31], v[14:15]
	v_div_scale_f64 v[14:15], vcc, v[22:23], v[12:13], v[22:23]
	v_mul_f64 v[18:19], v[14:15], v[30:31]
	v_fma_f64 v[20:21], -v[20:21], v[18:19], v[14:15]
	ds_read2st64_b64 v[14:17], v32 offset0:16 offset1:32
	s_nop 0
	v_div_fmas_f64 v[28:29], v[20:21], v[30:31], v[18:19]
	ds_read2st64_b64 v[18:21], v33 offset0:16 offset1:32
	v_div_fixup_f64 v[12:13], v[28:29], v[12:13], v[22:23]
	s_waitcnt lgkmcnt(0)
	v_fma_f64 v[14:15], -v[6:7], v[14:15], v[24:25]
	v_fma_f64 v[10:11], -v[12:13], v[10:11], v[14:15]
	;; [unrolled: 1-line block ×4, first 2 shown]
	v_mul_f64 v[6:7], v[12:13], -v[18:19]
	s_barrier
	ds_write_b64 v8, v[10:11]
	ds_write_b64 v1, v[14:15] offset:16384
	ds_write_b64 v1, v[4:5]
	ds_write_b64 v9, v[6:7]
	v_sub_u32_e64 v4, v0, 2 clamp
	v_lshlrev_b32_e32 v32, 3, v4
	s_waitcnt lgkmcnt(0)
	s_barrier
	ds_read2st64_b64 v[4:7], v32 offset1:8
	ds_read_b64 v[14:15], v1
	ds_read_b64 v[22:23], v1 offset:16384
	v_add_u32_e32 v10, 2, v0
	v_min_i32_e32 v12, s0, v10
	v_lshlrev_b32_e32 v33, 3, v12
	s_waitcnt lgkmcnt(1)
	v_div_scale_f64 v[16:17], s[6:7], v[6:7], v[6:7], v[14:15]
	v_rcp_f64_e32 v[18:19], v[16:17]
	ds_read_b64 v[24:25], v9
	ds_read_b64 v[26:27], v8
	v_div_scale_f64 v[20:21], vcc, v[14:15], v[6:7], v[14:15]
	v_fma_f64 v[10:11], -v[16:17], v[18:19], 1.0
	v_fmac_f64_e32 v[18:19], v[18:19], v[10:11]
	v_fma_f64 v[10:11], -v[16:17], v[18:19], 1.0
	v_fmac_f64_e32 v[18:19], v[18:19], v[10:11]
	ds_read2st64_b64 v[10:13], v33 offset1:8
	v_mul_f64 v[28:29], v[20:21], v[18:19]
	v_fma_f64 v[16:17], -v[16:17], v[28:29], v[20:21]
	v_div_fmas_f64 v[16:17], v[16:17], v[18:19], v[28:29]
	v_div_fixup_f64 v[6:7], v[16:17], v[6:7], v[14:15]
	s_waitcnt lgkmcnt(0)
	v_div_scale_f64 v[20:21], s[6:7], v[12:13], v[12:13], v[24:25]
	v_rcp_f64_e32 v[30:31], v[20:21]
	v_mul_f64 v[4:5], v[6:7], -v[4:5]
	s_movk_i32 s1, 0x80
	v_fma_f64 v[14:15], -v[20:21], v[30:31], 1.0
	v_fmac_f64_e32 v[30:31], v[30:31], v[14:15]
	v_fma_f64 v[14:15], -v[20:21], v[30:31], 1.0
	v_fmac_f64_e32 v[30:31], v[30:31], v[14:15]
	v_div_scale_f64 v[14:15], vcc, v[24:25], v[12:13], v[24:25]
	v_mul_f64 v[18:19], v[14:15], v[30:31]
	v_fma_f64 v[20:21], -v[20:21], v[18:19], v[14:15]
	ds_read2st64_b64 v[14:17], v32 offset0:16 offset1:32
	s_nop 0
	v_div_fmas_f64 v[28:29], v[20:21], v[30:31], v[18:19]
	ds_read2st64_b64 v[18:21], v33 offset0:16 offset1:32
	v_div_fixup_f64 v[12:13], v[28:29], v[12:13], v[24:25]
	s_waitcnt lgkmcnt(0)
	v_fma_f64 v[14:15], -v[6:7], v[14:15], v[26:27]
	v_fma_f64 v[10:11], -v[12:13], v[10:11], v[14:15]
	v_fma_f64 v[14:15], -v[6:7], v[16:17], v[22:23]
	v_fma_f64 v[14:15], -v[12:13], v[20:21], v[14:15]
	v_mul_f64 v[6:7], v[12:13], -v[18:19]
	s_barrier
	ds_write_b64 v8, v[10:11]
	ds_write_b64 v1, v[14:15] offset:16384
	ds_write_b64 v1, v[4:5]
	ds_write_b64 v9, v[6:7]
	v_sub_u32_e64 v4, v0, 4 clamp
	v_lshlrev_b32_e32 v32, 3, v4
	s_waitcnt lgkmcnt(0)
	s_barrier
	ds_read2st64_b64 v[4:7], v32 offset1:8
	ds_read_b64 v[14:15], v1
	ds_read_b64 v[22:23], v1 offset:16384
	v_add_u32_e32 v10, 4, v0
	v_min_i32_e32 v12, s0, v10
	v_lshlrev_b32_e32 v33, 3, v12
	s_waitcnt lgkmcnt(1)
	v_div_scale_f64 v[16:17], s[6:7], v[6:7], v[6:7], v[14:15]
	v_rcp_f64_e32 v[18:19], v[16:17]
	ds_read_b64 v[24:25], v9
	ds_read_b64 v[26:27], v8
	v_div_scale_f64 v[20:21], vcc, v[14:15], v[6:7], v[14:15]
	v_fma_f64 v[10:11], -v[16:17], v[18:19], 1.0
	v_fmac_f64_e32 v[18:19], v[18:19], v[10:11]
	v_fma_f64 v[10:11], -v[16:17], v[18:19], 1.0
	v_fmac_f64_e32 v[18:19], v[18:19], v[10:11]
	ds_read2st64_b64 v[10:13], v33 offset1:8
	v_mul_f64 v[28:29], v[20:21], v[18:19]
	v_fma_f64 v[16:17], -v[16:17], v[28:29], v[20:21]
	v_div_fmas_f64 v[16:17], v[16:17], v[18:19], v[28:29]
	v_div_fixup_f64 v[6:7], v[16:17], v[6:7], v[14:15]
	s_waitcnt lgkmcnt(0)
	v_div_scale_f64 v[20:21], s[6:7], v[12:13], v[12:13], v[24:25]
	v_rcp_f64_e32 v[30:31], v[20:21]
	v_mul_f64 v[4:5], v[6:7], -v[4:5]
	v_fma_f64 v[14:15], -v[20:21], v[30:31], 1.0
	v_fmac_f64_e32 v[30:31], v[30:31], v[14:15]
	v_fma_f64 v[14:15], -v[20:21], v[30:31], 1.0
	v_fmac_f64_e32 v[30:31], v[30:31], v[14:15]
	v_div_scale_f64 v[14:15], vcc, v[24:25], v[12:13], v[24:25]
	v_mul_f64 v[18:19], v[14:15], v[30:31]
	v_fma_f64 v[20:21], -v[20:21], v[18:19], v[14:15]
	ds_read2st64_b64 v[14:17], v32 offset0:16 offset1:32
	s_nop 0
	v_div_fmas_f64 v[28:29], v[20:21], v[30:31], v[18:19]
	ds_read2st64_b64 v[18:21], v33 offset0:16 offset1:32
	v_div_fixup_f64 v[12:13], v[28:29], v[12:13], v[24:25]
	s_waitcnt lgkmcnt(0)
	v_fma_f64 v[14:15], -v[6:7], v[14:15], v[26:27]
	v_fma_f64 v[10:11], -v[12:13], v[10:11], v[14:15]
	v_fma_f64 v[14:15], -v[6:7], v[16:17], v[22:23]
	v_fma_f64 v[14:15], -v[12:13], v[20:21], v[14:15]
	v_mul_f64 v[6:7], v[12:13], -v[18:19]
	s_barrier
	ds_write_b64 v8, v[10:11]
	ds_write_b64 v1, v[14:15] offset:16384
	ds_write_b64 v1, v[4:5]
	ds_write_b64 v9, v[6:7]
	v_sub_u32_e64 v4, v0, 8 clamp
	v_lshlrev_b32_e32 v32, 3, v4
	s_waitcnt lgkmcnt(0)
	s_barrier
	ds_read2st64_b64 v[4:7], v32 offset1:8
	ds_read_b64 v[14:15], v1
	ds_read_b64 v[22:23], v1 offset:16384
	v_add_u32_e32 v10, 8, v0
	v_min_i32_e32 v12, s0, v10
	v_lshlrev_b32_e32 v33, 3, v12
	s_waitcnt lgkmcnt(1)
	v_div_scale_f64 v[16:17], s[6:7], v[6:7], v[6:7], v[14:15]
	v_rcp_f64_e32 v[18:19], v[16:17]
	ds_read_b64 v[24:25], v9
	ds_read_b64 v[26:27], v8
	v_div_scale_f64 v[20:21], vcc, v[14:15], v[6:7], v[14:15]
	v_fma_f64 v[10:11], -v[16:17], v[18:19], 1.0
	v_fmac_f64_e32 v[18:19], v[18:19], v[10:11]
	v_fma_f64 v[10:11], -v[16:17], v[18:19], 1.0
	v_fmac_f64_e32 v[18:19], v[18:19], v[10:11]
	ds_read2st64_b64 v[10:13], v33 offset1:8
	v_mul_f64 v[28:29], v[20:21], v[18:19]
	v_fma_f64 v[16:17], -v[16:17], v[28:29], v[20:21]
	v_div_fmas_f64 v[16:17], v[16:17], v[18:19], v[28:29]
	v_div_fixup_f64 v[6:7], v[16:17], v[6:7], v[14:15]
	s_waitcnt lgkmcnt(0)
	v_div_scale_f64 v[20:21], s[6:7], v[12:13], v[12:13], v[24:25]
	v_rcp_f64_e32 v[30:31], v[20:21]
	v_mul_f64 v[4:5], v[6:7], -v[4:5]
	;; [unrolled: 52-line block ×5, first 2 shown]
	v_fma_f64 v[14:15], -v[20:21], v[30:31], 1.0
	v_fmac_f64_e32 v[30:31], v[30:31], v[14:15]
	v_fma_f64 v[14:15], -v[20:21], v[30:31], 1.0
	v_fmac_f64_e32 v[30:31], v[30:31], v[14:15]
	v_div_scale_f64 v[14:15], vcc, v[24:25], v[12:13], v[24:25]
	v_mul_f64 v[18:19], v[14:15], v[30:31]
	v_fma_f64 v[20:21], -v[20:21], v[18:19], v[14:15]
	ds_read2st64_b64 v[14:17], v32 offset0:16 offset1:32
	s_nop 0
	v_div_fmas_f64 v[28:29], v[20:21], v[30:31], v[18:19]
	ds_read2st64_b64 v[18:21], v33 offset0:16 offset1:32
	v_div_fixup_f64 v[12:13], v[28:29], v[12:13], v[24:25]
	s_waitcnt lgkmcnt(0)
	v_fma_f64 v[14:15], -v[6:7], v[14:15], v[26:27]
	v_fma_f64 v[10:11], -v[12:13], v[10:11], v[14:15]
	;; [unrolled: 1-line block ×4, first 2 shown]
	v_mul_f64 v[6:7], v[12:13], -v[18:19]
	s_barrier
	ds_write_b64 v8, v[10:11]
	ds_write_b64 v1, v[14:15] offset:16384
	ds_write_b64 v1, v[4:5]
	ds_write_b64 v9, v[6:7]
	v_sub_u32_e64 v4, v0, s1 clamp
	v_lshlrev_b32_e32 v32, 3, v4
	s_waitcnt lgkmcnt(0)
	s_barrier
	ds_read2st64_b64 v[4:7], v32 offset1:8
	ds_read_b64 v[14:15], v1
	ds_read_b64 v[22:23], v1 offset:16384
	v_add_u32_e32 v10, 0x80, v0
	v_min_i32_e32 v12, s0, v10
	v_lshlrev_b32_e32 v33, 3, v12
	s_waitcnt lgkmcnt(1)
	v_div_scale_f64 v[16:17], s[6:7], v[6:7], v[6:7], v[14:15]
	v_rcp_f64_e32 v[18:19], v[16:17]
	ds_read_b64 v[24:25], v9
	ds_read_b64 v[26:27], v8
	v_div_scale_f64 v[20:21], vcc, v[14:15], v[6:7], v[14:15]
	v_fma_f64 v[10:11], -v[16:17], v[18:19], 1.0
	v_fmac_f64_e32 v[18:19], v[18:19], v[10:11]
	v_fma_f64 v[10:11], -v[16:17], v[18:19], 1.0
	v_fmac_f64_e32 v[18:19], v[18:19], v[10:11]
	ds_read2st64_b64 v[10:13], v33 offset1:8
	v_mul_f64 v[28:29], v[20:21], v[18:19]
	v_fma_f64 v[16:17], -v[16:17], v[28:29], v[20:21]
	v_div_fmas_f64 v[16:17], v[16:17], v[18:19], v[28:29]
	v_div_fixup_f64 v[6:7], v[16:17], v[6:7], v[14:15]
	s_waitcnt lgkmcnt(0)
	v_div_scale_f64 v[20:21], s[0:1], v[12:13], v[12:13], v[24:25]
	v_rcp_f64_e32 v[30:31], v[20:21]
	s_movk_i32 s0, 0x100
	v_mul_f64 v[4:5], v[6:7], -v[4:5]
	v_fma_f64 v[14:15], -v[20:21], v[30:31], 1.0
	v_fmac_f64_e32 v[30:31], v[30:31], v[14:15]
	v_fma_f64 v[14:15], -v[20:21], v[30:31], 1.0
	v_fmac_f64_e32 v[30:31], v[30:31], v[14:15]
	v_div_scale_f64 v[14:15], vcc, v[24:25], v[12:13], v[24:25]
	v_mul_f64 v[18:19], v[14:15], v[30:31]
	v_fma_f64 v[20:21], -v[20:21], v[18:19], v[14:15]
	ds_read2st64_b64 v[14:17], v32 offset0:16 offset1:32
	s_nop 0
	v_div_fmas_f64 v[28:29], v[20:21], v[30:31], v[18:19]
	ds_read2st64_b64 v[18:21], v33 offset0:16 offset1:32
	v_div_fixup_f64 v[12:13], v[28:29], v[12:13], v[24:25]
	v_cmp_gt_u32_e32 vcc, s0, v0
	s_waitcnt lgkmcnt(1)
	v_fma_f64 v[14:15], -v[6:7], v[14:15], v[26:27]
	v_fma_f64 v[10:11], -v[12:13], v[10:11], v[14:15]
	;; [unrolled: 1-line block ×3, first 2 shown]
	s_waitcnt lgkmcnt(0)
	v_fma_f64 v[14:15], -v[12:13], v[20:21], v[14:15]
	v_mul_f64 v[6:7], v[12:13], -v[18:19]
	s_barrier
	ds_write_b64 v8, v[10:11]
	ds_write_b64 v1, v[14:15] offset:16384
	ds_write_b64 v1, v[4:5]
	ds_write_b64 v9, v[6:7]
	s_waitcnt lgkmcnt(0)
	s_barrier
	s_and_saveexec_b64 s[0:1], vcc
	s_cbranch_execz .LBB37_14
; %bb.9:
	v_or_b32_e32 v6, 0x100, v0
	v_or_b32_e32 v7, 0x4000, v1
	v_cmp_le_i32_e32 vcc, s8, v6
                                        ; implicit-def: $vgpr4_vgpr5
	s_and_saveexec_b64 s[6:7], vcc
	s_xor_b64 s[6:7], exec, s[6:7]
	s_cbranch_execz .LBB37_11
; %bb.10:
	ds_read_b64 v[4:5], v7
	ds_read_b64 v[6:7], v8
	s_waitcnt lgkmcnt(0)
	v_div_scale_f64 v[8:9], s[8:9], v[6:7], v[6:7], v[4:5]
	v_rcp_f64_e32 v[10:11], v[8:9]
	v_div_scale_f64 v[12:13], vcc, v[4:5], v[6:7], v[4:5]
	v_fma_f64 v[14:15], -v[8:9], v[10:11], 1.0
	v_fmac_f64_e32 v[10:11], v[10:11], v[14:15]
	v_fma_f64 v[14:15], -v[8:9], v[10:11], 1.0
	v_fmac_f64_e32 v[10:11], v[10:11], v[14:15]
	v_mul_f64 v[14:15], v[12:13], v[10:11]
	v_fma_f64 v[8:9], -v[8:9], v[14:15], v[12:13]
	v_div_fmas_f64 v[8:9], v[8:9], v[10:11], v[14:15]
	v_div_fixup_f64 v[4:5], v[8:9], v[6:7], v[4:5]
                                        ; implicit-def: $vgpr8
                                        ; implicit-def: $vgpr9
                                        ; implicit-def: $vgpr7
                                        ; implicit-def: $vgpr6
.LBB37_11:
	s_andn2_saveexec_b64 s[6:7], s[6:7]
	s_cbranch_execz .LBB37_13
; %bb.12:
	ds_read_b64 v[4:5], v9
	ds_read_b64 v[16:17], v1 offset:2048
	ds_read2st64_b64 v[8:11], v8 offset1:4
	v_mov_b32_e32 v0, v6
	s_waitcnt lgkmcnt(1)
	v_mul_f64 v[12:13], v[4:5], v[16:17]
	s_waitcnt lgkmcnt(0)
	v_fma_f64 v[18:19], v[10:11], v[8:9], -v[12:13]
	v_div_scale_f64 v[20:21], s[8:9], v[18:19], v[18:19], 1.0
	v_rcp_f64_e32 v[22:23], v[20:21]
	ds_read2st64_b64 v[12:15], v7 offset1:4
	v_div_scale_f64 v[24:25], vcc, 1.0, v[18:19], 1.0
	v_fma_f64 v[26:27], -v[20:21], v[22:23], 1.0
	v_fmac_f64_e32 v[22:23], v[22:23], v[26:27]
	v_fma_f64 v[26:27], -v[20:21], v[22:23], 1.0
	v_fmac_f64_e32 v[22:23], v[22:23], v[26:27]
	v_mul_f64 v[26:27], v[24:25], v[22:23]
	v_fma_f64 v[20:21], -v[20:21], v[26:27], v[24:25]
	v_div_fmas_f64 v[20:21], v[20:21], v[22:23], v[26:27]
	s_waitcnt lgkmcnt(0)
	v_mul_f64 v[4:5], v[4:5], v[14:15]
	v_div_fixup_f64 v[18:19], v[20:21], v[18:19], 1.0
	v_fma_f64 v[4:5], v[10:11], v[12:13], -v[4:5]
	v_mul_f64 v[4:5], v[18:19], v[4:5]
	ds_write_b64 v1, v[4:5] offset:12288
	v_mul_f64 v[4:5], v[16:17], v[12:13]
	v_fma_f64 v[4:5], v[8:9], v[14:15], -v[4:5]
	v_mul_f64 v[4:5], v[18:19], v[4:5]
.LBB37_13:
	s_or_b64 exec, exec, s[6:7]
	v_lshlrev_b32_e32 v0, 3, v0
	ds_write_b64 v0, v[4:5] offset:12288
.LBB37_14:
	s_or_b64 exec, exec, s[0:1]
	s_waitcnt lgkmcnt(0)
	s_barrier
	s_and_saveexec_b64 s[0:1], s[2:3]
	s_cbranch_execz .LBB37_16
; %bb.15:
	ds_read_b64 v[0:1], v1 offset:12288
	v_lshl_add_u64 v[2:3], v[2:3], 3, s[4:5]
	s_waitcnt lgkmcnt(0)
	global_store_dwordx2 v[2:3], v[0:1], off
.LBB37_16:
	s_endpgm
	.section	.rodata,"a",@progbits
	.p2align	6, 0x0
	.amdhsa_kernel _ZN9rocsparseL44gtsv_nopivot_strided_batch_pcr_shared_kernelILj512EdEEviiiPKT0_S3_S3_PS1_
		.amdhsa_group_segment_fixed_size 20480
		.amdhsa_private_segment_fixed_size 0
		.amdhsa_kernarg_size 48
		.amdhsa_user_sgpr_count 2
		.amdhsa_user_sgpr_dispatch_ptr 0
		.amdhsa_user_sgpr_queue_ptr 0
		.amdhsa_user_sgpr_kernarg_segment_ptr 1
		.amdhsa_user_sgpr_dispatch_id 0
		.amdhsa_user_sgpr_kernarg_preload_length 0
		.amdhsa_user_sgpr_kernarg_preload_offset 0
		.amdhsa_user_sgpr_private_segment_size 0
		.amdhsa_uses_dynamic_stack 0
		.amdhsa_enable_private_segment 0
		.amdhsa_system_sgpr_workgroup_id_x 1
		.amdhsa_system_sgpr_workgroup_id_y 0
		.amdhsa_system_sgpr_workgroup_id_z 0
		.amdhsa_system_sgpr_workgroup_info 0
		.amdhsa_system_vgpr_workitem_id 0
		.amdhsa_next_free_vgpr 34
		.amdhsa_next_free_sgpr 10
		.amdhsa_accum_offset 36
		.amdhsa_reserve_vcc 1
		.amdhsa_float_round_mode_32 0
		.amdhsa_float_round_mode_16_64 0
		.amdhsa_float_denorm_mode_32 3
		.amdhsa_float_denorm_mode_16_64 3
		.amdhsa_dx10_clamp 1
		.amdhsa_ieee_mode 1
		.amdhsa_fp16_overflow 0
		.amdhsa_tg_split 0
		.amdhsa_exception_fp_ieee_invalid_op 0
		.amdhsa_exception_fp_denorm_src 0
		.amdhsa_exception_fp_ieee_div_zero 0
		.amdhsa_exception_fp_ieee_overflow 0
		.amdhsa_exception_fp_ieee_underflow 0
		.amdhsa_exception_fp_ieee_inexact 0
		.amdhsa_exception_int_div_zero 0
	.end_amdhsa_kernel
	.section	.text._ZN9rocsparseL44gtsv_nopivot_strided_batch_pcr_shared_kernelILj512EdEEviiiPKT0_S3_S3_PS1_,"axG",@progbits,_ZN9rocsparseL44gtsv_nopivot_strided_batch_pcr_shared_kernelILj512EdEEviiiPKT0_S3_S3_PS1_,comdat
.Lfunc_end37:
	.size	_ZN9rocsparseL44gtsv_nopivot_strided_batch_pcr_shared_kernelILj512EdEEviiiPKT0_S3_S3_PS1_, .Lfunc_end37-_ZN9rocsparseL44gtsv_nopivot_strided_batch_pcr_shared_kernelILj512EdEEviiiPKT0_S3_S3_PS1_
                                        ; -- End function
	.set _ZN9rocsparseL44gtsv_nopivot_strided_batch_pcr_shared_kernelILj512EdEEviiiPKT0_S3_S3_PS1_.num_vgpr, 34
	.set _ZN9rocsparseL44gtsv_nopivot_strided_batch_pcr_shared_kernelILj512EdEEviiiPKT0_S3_S3_PS1_.num_agpr, 0
	.set _ZN9rocsparseL44gtsv_nopivot_strided_batch_pcr_shared_kernelILj512EdEEviiiPKT0_S3_S3_PS1_.numbered_sgpr, 10
	.set _ZN9rocsparseL44gtsv_nopivot_strided_batch_pcr_shared_kernelILj512EdEEviiiPKT0_S3_S3_PS1_.num_named_barrier, 0
	.set _ZN9rocsparseL44gtsv_nopivot_strided_batch_pcr_shared_kernelILj512EdEEviiiPKT0_S3_S3_PS1_.private_seg_size, 0
	.set _ZN9rocsparseL44gtsv_nopivot_strided_batch_pcr_shared_kernelILj512EdEEviiiPKT0_S3_S3_PS1_.uses_vcc, 1
	.set _ZN9rocsparseL44gtsv_nopivot_strided_batch_pcr_shared_kernelILj512EdEEviiiPKT0_S3_S3_PS1_.uses_flat_scratch, 0
	.set _ZN9rocsparseL44gtsv_nopivot_strided_batch_pcr_shared_kernelILj512EdEEviiiPKT0_S3_S3_PS1_.has_dyn_sized_stack, 0
	.set _ZN9rocsparseL44gtsv_nopivot_strided_batch_pcr_shared_kernelILj512EdEEviiiPKT0_S3_S3_PS1_.has_recursion, 0
	.set _ZN9rocsparseL44gtsv_nopivot_strided_batch_pcr_shared_kernelILj512EdEEviiiPKT0_S3_S3_PS1_.has_indirect_call, 0
	.section	.AMDGPU.csdata,"",@progbits
; Kernel info:
; codeLenInByte = 3508
; TotalNumSgprs: 16
; NumVgprs: 34
; NumAgprs: 0
; TotalNumVgprs: 34
; ScratchSize: 0
; MemoryBound: 1
; FloatMode: 240
; IeeeMode: 1
; LDSByteSize: 20480 bytes/workgroup (compile time only)
; SGPRBlocks: 1
; VGPRBlocks: 4
; NumSGPRsForWavesPerEU: 16
; NumVGPRsForWavesPerEU: 34
; AccumOffset: 36
; Occupancy: 8
; WaveLimiterHint : 1
; COMPUTE_PGM_RSRC2:SCRATCH_EN: 0
; COMPUTE_PGM_RSRC2:USER_SGPR: 2
; COMPUTE_PGM_RSRC2:TRAP_HANDLER: 0
; COMPUTE_PGM_RSRC2:TGID_X_EN: 1
; COMPUTE_PGM_RSRC2:TGID_Y_EN: 0
; COMPUTE_PGM_RSRC2:TGID_Z_EN: 0
; COMPUTE_PGM_RSRC2:TIDIG_COMP_CNT: 0
; COMPUTE_PGM_RSRC3_GFX90A:ACCUM_OFFSET: 8
; COMPUTE_PGM_RSRC3_GFX90A:TG_SPLIT: 0
	.section	.text._ZN9rocsparseL49gtsv_nopivot_strided_batch_pcr_pow2_stage1_kernelILj256EdEEviiiiPKT0_S3_S3_S3_PS1_S4_S4_S4_,"axG",@progbits,_ZN9rocsparseL49gtsv_nopivot_strided_batch_pcr_pow2_stage1_kernelILj256EdEEviiiiPKT0_S3_S3_S3_PS1_S4_S4_S4_,comdat
	.globl	_ZN9rocsparseL49gtsv_nopivot_strided_batch_pcr_pow2_stage1_kernelILj256EdEEviiiiPKT0_S3_S3_S3_PS1_S4_S4_S4_ ; -- Begin function _ZN9rocsparseL49gtsv_nopivot_strided_batch_pcr_pow2_stage1_kernelILj256EdEEviiiiPKT0_S3_S3_S3_PS1_S4_S4_S4_
	.p2align	8
	.type	_ZN9rocsparseL49gtsv_nopivot_strided_batch_pcr_pow2_stage1_kernelILj256EdEEviiiiPKT0_S3_S3_S3_PS1_S4_S4_S4_,@function
_ZN9rocsparseL49gtsv_nopivot_strided_batch_pcr_pow2_stage1_kernelILj256EdEEviiiiPKT0_S3_S3_S3_PS1_S4_S4_S4_: ; @_ZN9rocsparseL49gtsv_nopivot_strided_batch_pcr_pow2_stage1_kernelILj256EdEEviiiiPKT0_S3_S3_S3_PS1_S4_S4_S4_
; %bb.0:
	s_load_dwordx2 s[20:21], s[0:1], 0x0
	s_load_dwordx8 s[12:19], s[0:1], 0x30
	s_load_dword s24, s[0:1], 0xc
	s_load_dwordx8 s[4:11], s[0:1], 0x10
	v_lshl_or_b32 v0, s2, 8, v0
	s_waitcnt lgkmcnt(0)
	v_add_u32_e32 v1, s20, v0
	s_add_i32 s0, s21, -1
	v_min_i32_e32 v2, s0, v1
	s_mul_i32 s0, s21, s3
	s_ashr_i32 s1, s0, 31
	s_lshl_b64 s[22:23], s[0:1], 3
	s_add_u32 s0, s18, s22
	s_mul_i32 s2, s24, s3
	s_addc_u32 s1, s19, s23
	s_ashr_i32 s3, s2, 31
	s_lshl_b64 s[18:19], s[2:3], 3
	s_add_u32 s24, s10, s18
	s_addc_u32 s25, s11, s19
	s_add_u32 s2, s16, s22
	s_addc_u32 s3, s17, s23
	;; [unrolled: 2-line block ×5, first 2 shown]
	v_subrev_u32_e32 v1, s20, v0
	s_add_u32 s6, s12, s22
	v_max_i32_e32 v4, 0, v1
	v_ashrrev_i32_e32 v1, 31, v0
	s_addc_u32 s7, s13, s23
	v_lshlrev_b64 v[0:1], 3, v[0:1]
	v_ashrrev_i32_e32 v3, 31, v2
	s_add_u32 s4, s4, s18
	v_lshl_add_u64 v[8:9], s[10:11], 0, v[0:1]
	v_lshlrev_b64 v[2:3], 3, v[2:3]
	s_addc_u32 s5, s5, s19
	global_load_dwordx2 v[8:9], v[8:9], off
	v_lshl_add_u64 v[10:11], s[14:15], 0, v[2:3]
	v_mov_b32_e32 v5, 0
	v_lshl_add_u64 v[6:7], s[4:5], 0, v[0:1]
	global_load_dwordx2 v[12:13], v[10:11], off
	global_load_dwordx2 v[14:15], v[6:7], off
	v_lshlrev_b64 v[4:5], 3, v[4:5]
	v_lshl_add_u64 v[6:7], s[14:15], 0, v[4:5]
	global_load_dwordx2 v[6:7], v[6:7], off
	v_lshl_add_u64 v[18:19], s[14:15], 0, v[0:1]
	v_lshl_add_u64 v[20:21], s[10:11], 0, v[4:5]
	;; [unrolled: 1-line block ×3, first 2 shown]
	global_load_dwordx2 v[18:19], v[18:19], off
	v_lshl_add_u64 v[24:25], s[24:25], 0, v[0:1]
	global_load_dwordx2 v[20:21], v[20:21], off
	v_lshl_add_u64 v[10:11], s[24:25], 0, v[2:3]
	;; [unrolled: 2-line block ×4, first 2 shown]
	v_lshl_add_u64 v[2:3], s[10:11], 0, v[2:3]
	global_load_dwordx2 v[26:27], v[4:5], off
	global_load_dwordx2 v[28:29], v[22:23], off
	;; [unrolled: 1-line block ×3, first 2 shown]
	v_lshl_add_u64 v[4:5], s[0:1], 0, v[0:1]
	global_load_dwordx2 v[2:3], v[2:3], off
	v_lshl_add_u64 v[10:11], s[2:3], 0, v[0:1]
	v_lshl_add_u64 v[22:23], s[8:9], 0, v[0:1]
	;; [unrolled: 1-line block ×3, first 2 shown]
	s_waitcnt vmcnt(10)
	v_div_scale_f64 v[32:33], s[0:1], v[12:13], v[12:13], v[8:9]
	v_rcp_f64_e32 v[36:37], v[32:33]
	v_div_scale_f64 v[34:35], s[0:1], v[8:9], v[12:13], v[8:9]
	s_waitcnt vmcnt(8)
	v_div_scale_f64 v[38:39], s[2:3], v[6:7], v[6:7], v[14:15]
	v_rcp_f64_e32 v[42:43], v[38:39]
	v_fma_f64 v[44:45], -v[32:33], v[36:37], 1.0
	v_fmac_f64_e32 v[36:37], v[36:37], v[44:45]
	v_fma_f64 v[44:45], -v[32:33], v[36:37], 1.0
	v_fmac_f64_e32 v[36:37], v[36:37], v[44:45]
	v_fma_f64 v[44:45], -v[38:39], v[42:43], 1.0
	v_mul_f64 v[46:47], v[34:35], v[36:37]
	v_fmac_f64_e32 v[42:43], v[42:43], v[44:45]
	v_fma_f64 v[32:33], -v[32:33], v[46:47], v[34:35]
	v_fma_f64 v[34:35], -v[38:39], v[42:43], 1.0
	v_div_scale_f64 v[40:41], vcc, v[14:15], v[6:7], v[14:15]
	v_fmac_f64_e32 v[42:43], v[42:43], v[34:35]
	v_mul_f64 v[34:35], v[40:41], v[42:43]
	v_fma_f64 v[38:39], -v[38:39], v[34:35], v[40:41]
	s_nop 0
	v_div_fmas_f64 v[34:35], v[38:39], v[42:43], v[34:35]
	s_mov_b64 vcc, s[0:1]
	v_div_fixup_f64 v[6:7], v[34:35], v[6:7], v[14:15]
	v_div_fmas_f64 v[14:15], v[32:33], v[36:37], v[46:47]
	v_div_fixup_f64 v[8:9], v[14:15], v[12:13], v[8:9]
	s_waitcnt vmcnt(6)
	v_fma_f64 v[12:13], -v[6:7], v[20:21], v[18:19]
	s_waitcnt vmcnt(4)
	v_fma_f64 v[14:15], -v[6:7], v[16:17], v[24:25]
	s_waitcnt vmcnt(3)
	v_mul_f64 v[6:7], v[6:7], -v[26:27]
	s_waitcnt vmcnt(2)
	v_fma_f64 v[12:13], -v[8:9], v[28:29], v[12:13]
	s_waitcnt vmcnt(1)
	v_fma_f64 v[14:15], -v[30:31], v[8:9], v[14:15]
	global_store_dwordx2 v[0:1], v[6:7], off
	s_waitcnt vmcnt(1)
	v_mul_f64 v[0:1], v[8:9], -v[2:3]
	global_store_dwordx2 v[22:23], v[12:13], off
	global_store_dwordx2 v[4:5], v[14:15], off
	;; [unrolled: 1-line block ×3, first 2 shown]
	s_endpgm
	.section	.rodata,"a",@progbits
	.p2align	6, 0x0
	.amdhsa_kernel _ZN9rocsparseL49gtsv_nopivot_strided_batch_pcr_pow2_stage1_kernelILj256EdEEviiiiPKT0_S3_S3_S3_PS1_S4_S4_S4_
		.amdhsa_group_segment_fixed_size 0
		.amdhsa_private_segment_fixed_size 0
		.amdhsa_kernarg_size 80
		.amdhsa_user_sgpr_count 2
		.amdhsa_user_sgpr_dispatch_ptr 0
		.amdhsa_user_sgpr_queue_ptr 0
		.amdhsa_user_sgpr_kernarg_segment_ptr 1
		.amdhsa_user_sgpr_dispatch_id 0
		.amdhsa_user_sgpr_kernarg_preload_length 0
		.amdhsa_user_sgpr_kernarg_preload_offset 0
		.amdhsa_user_sgpr_private_segment_size 0
		.amdhsa_uses_dynamic_stack 0
		.amdhsa_enable_private_segment 0
		.amdhsa_system_sgpr_workgroup_id_x 1
		.amdhsa_system_sgpr_workgroup_id_y 1
		.amdhsa_system_sgpr_workgroup_id_z 0
		.amdhsa_system_sgpr_workgroup_info 0
		.amdhsa_system_vgpr_workitem_id 0
		.amdhsa_next_free_vgpr 48
		.amdhsa_next_free_sgpr 26
		.amdhsa_accum_offset 48
		.amdhsa_reserve_vcc 1
		.amdhsa_float_round_mode_32 0
		.amdhsa_float_round_mode_16_64 0
		.amdhsa_float_denorm_mode_32 3
		.amdhsa_float_denorm_mode_16_64 3
		.amdhsa_dx10_clamp 1
		.amdhsa_ieee_mode 1
		.amdhsa_fp16_overflow 0
		.amdhsa_tg_split 0
		.amdhsa_exception_fp_ieee_invalid_op 0
		.amdhsa_exception_fp_denorm_src 0
		.amdhsa_exception_fp_ieee_div_zero 0
		.amdhsa_exception_fp_ieee_overflow 0
		.amdhsa_exception_fp_ieee_underflow 0
		.amdhsa_exception_fp_ieee_inexact 0
		.amdhsa_exception_int_div_zero 0
	.end_amdhsa_kernel
	.section	.text._ZN9rocsparseL49gtsv_nopivot_strided_batch_pcr_pow2_stage1_kernelILj256EdEEviiiiPKT0_S3_S3_S3_PS1_S4_S4_S4_,"axG",@progbits,_ZN9rocsparseL49gtsv_nopivot_strided_batch_pcr_pow2_stage1_kernelILj256EdEEviiiiPKT0_S3_S3_S3_PS1_S4_S4_S4_,comdat
.Lfunc_end38:
	.size	_ZN9rocsparseL49gtsv_nopivot_strided_batch_pcr_pow2_stage1_kernelILj256EdEEviiiiPKT0_S3_S3_S3_PS1_S4_S4_S4_, .Lfunc_end38-_ZN9rocsparseL49gtsv_nopivot_strided_batch_pcr_pow2_stage1_kernelILj256EdEEviiiiPKT0_S3_S3_S3_PS1_S4_S4_S4_
                                        ; -- End function
	.set _ZN9rocsparseL49gtsv_nopivot_strided_batch_pcr_pow2_stage1_kernelILj256EdEEviiiiPKT0_S3_S3_S3_PS1_S4_S4_S4_.num_vgpr, 48
	.set _ZN9rocsparseL49gtsv_nopivot_strided_batch_pcr_pow2_stage1_kernelILj256EdEEviiiiPKT0_S3_S3_S3_PS1_S4_S4_S4_.num_agpr, 0
	.set _ZN9rocsparseL49gtsv_nopivot_strided_batch_pcr_pow2_stage1_kernelILj256EdEEviiiiPKT0_S3_S3_S3_PS1_S4_S4_S4_.numbered_sgpr, 26
	.set _ZN9rocsparseL49gtsv_nopivot_strided_batch_pcr_pow2_stage1_kernelILj256EdEEviiiiPKT0_S3_S3_S3_PS1_S4_S4_S4_.num_named_barrier, 0
	.set _ZN9rocsparseL49gtsv_nopivot_strided_batch_pcr_pow2_stage1_kernelILj256EdEEviiiiPKT0_S3_S3_S3_PS1_S4_S4_S4_.private_seg_size, 0
	.set _ZN9rocsparseL49gtsv_nopivot_strided_batch_pcr_pow2_stage1_kernelILj256EdEEviiiiPKT0_S3_S3_S3_PS1_S4_S4_S4_.uses_vcc, 1
	.set _ZN9rocsparseL49gtsv_nopivot_strided_batch_pcr_pow2_stage1_kernelILj256EdEEviiiiPKT0_S3_S3_S3_PS1_S4_S4_S4_.uses_flat_scratch, 0
	.set _ZN9rocsparseL49gtsv_nopivot_strided_batch_pcr_pow2_stage1_kernelILj256EdEEviiiiPKT0_S3_S3_S3_PS1_S4_S4_S4_.has_dyn_sized_stack, 0
	.set _ZN9rocsparseL49gtsv_nopivot_strided_batch_pcr_pow2_stage1_kernelILj256EdEEviiiiPKT0_S3_S3_S3_PS1_S4_S4_S4_.has_recursion, 0
	.set _ZN9rocsparseL49gtsv_nopivot_strided_batch_pcr_pow2_stage1_kernelILj256EdEEviiiiPKT0_S3_S3_S3_PS1_S4_S4_S4_.has_indirect_call, 0
	.section	.AMDGPU.csdata,"",@progbits
; Kernel info:
; codeLenInByte = 688
; TotalNumSgprs: 32
; NumVgprs: 48
; NumAgprs: 0
; TotalNumVgprs: 48
; ScratchSize: 0
; MemoryBound: 0
; FloatMode: 240
; IeeeMode: 1
; LDSByteSize: 0 bytes/workgroup (compile time only)
; SGPRBlocks: 3
; VGPRBlocks: 5
; NumSGPRsForWavesPerEU: 32
; NumVGPRsForWavesPerEU: 48
; AccumOffset: 48
; Occupancy: 8
; WaveLimiterHint : 0
; COMPUTE_PGM_RSRC2:SCRATCH_EN: 0
; COMPUTE_PGM_RSRC2:USER_SGPR: 2
; COMPUTE_PGM_RSRC2:TRAP_HANDLER: 0
; COMPUTE_PGM_RSRC2:TGID_X_EN: 1
; COMPUTE_PGM_RSRC2:TGID_Y_EN: 1
; COMPUTE_PGM_RSRC2:TGID_Z_EN: 0
; COMPUTE_PGM_RSRC2:TIDIG_COMP_CNT: 0
; COMPUTE_PGM_RSRC3_GFX90A:ACCUM_OFFSET: 11
; COMPUTE_PGM_RSRC3_GFX90A:TG_SPLIT: 0
	.section	.text._ZN9rocsparseL48gtsv_nopivot_strided_batch_cr_pow2_stage2_kernelILj256EdEEviiiPKT0_S3_S3_S3_PS1_,"axG",@progbits,_ZN9rocsparseL48gtsv_nopivot_strided_batch_cr_pow2_stage2_kernelILj256EdEEviiiPKT0_S3_S3_S3_PS1_,comdat
	.globl	_ZN9rocsparseL48gtsv_nopivot_strided_batch_cr_pow2_stage2_kernelILj256EdEEviiiPKT0_S3_S3_S3_PS1_ ; -- Begin function _ZN9rocsparseL48gtsv_nopivot_strided_batch_cr_pow2_stage2_kernelILj256EdEEviiiPKT0_S3_S3_S3_PS1_
	.p2align	8
	.type	_ZN9rocsparseL48gtsv_nopivot_strided_batch_cr_pow2_stage2_kernelILj256EdEEviiiPKT0_S3_S3_S3_PS1_,@function
_ZN9rocsparseL48gtsv_nopivot_strided_batch_cr_pow2_stage2_kernelILj256EdEEviiiPKT0_S3_S3_S3_PS1_: ; @_ZN9rocsparseL48gtsv_nopivot_strided_batch_cr_pow2_stage2_kernelILj256EdEEviiiPKT0_S3_S3_S3_PS1_
; %bb.0:
	s_load_dword s12, s[0:1], 0x38
	s_load_dword s13, s[0:1], 0x0
	s_load_dwordx8 s[4:11], s[0:1], 0x10
	v_mov_b32_e32 v3, 0
	s_waitcnt lgkmcnt(0)
	v_mul_lo_u32 v1, s12, v0
	v_add_u32_e32 v1, s2, v1
	s_mul_i32 s13, s13, s3
	v_add_u32_e32 v2, s13, v1
	v_lshlrev_b64 v[4:5], 3, v[2:3]
	v_lshl_add_u64 v[6:7], s[4:5], 0, v[4:5]
	v_lshl_add_u64 v[8:9], s[6:7], 0, v[4:5]
	;; [unrolled: 1-line block ×4, first 2 shown]
	global_load_dwordx2 v[12:13], v[4:5], off
	v_lshl_add_u32 v4, s12, 8, v1
	v_add_u32_e32 v2, s13, v4
	v_lshlrev_b64 v[2:3], 3, v[2:3]
	v_lshl_add_u64 v[14:15], s[4:5], 0, v[2:3]
	global_load_dwordx2 v[6:7], v[6:7], off
	v_lshl_add_u64 v[16:17], s[6:7], 0, v[2:3]
	global_load_dwordx2 v[14:15], v[14:15], off
	;; [unrolled: 2-line block ×4, first 2 shown]
	s_mov_b32 s4, 0
	global_load_dwordx2 v[10:11], v[10:11], off
	s_movk_i32 s2, 0x100
	global_load_dwordx2 v[18:19], v[18:19], off
	s_mov_b32 s5, s4
	global_load_dwordx2 v[20:21], v[2:3], off
	v_lshlrev_b32_e32 v5, 3, v0
	v_add_u32_e32 v2, 1, v0
	v_mov_b64_e32 v[22:23], s[4:5]
	v_cmp_gt_u32_e64 s[20:21], s2, v0
	ds_write2st64_b64 v5, v[22:23], v[22:23] offset0:24 offset1:28
	s_waitcnt vmcnt(5)
	ds_write2st64_b64 v5, v[6:7], v[14:15] offset1:4
	s_waitcnt vmcnt(3)
	ds_write2st64_b64 v5, v[8:9], v[16:17] offset0:8 offset1:12
	s_waitcnt vmcnt(1)
	ds_write2st64_b64 v5, v[10:11], v[18:19] offset0:16 offset1:20
	;; [unrolled: 2-line block ×3, first 2 shown]
	s_waitcnt lgkmcnt(0)
	s_barrier
	s_and_saveexec_b64 s[4:5], s[20:21]
	s_cbranch_execz .LBB39_2
; %bb.1:
	v_lshlrev_b32_e32 v3, 4, v2
	v_add_u32_e32 v6, -16, v3
	ds_read_b128 v[6:9], v6
	ds_read_b128 v[10:13], v3 offset:4080
	ds_read_b128 v[14:17], v3 offset:8176
	;; [unrolled: 1-line block ×3, first 2 shown]
	v_lshlrev_b32_e32 v22, 1, v2
	v_min_u32_e32 v24, 0x1ff, v22
	s_waitcnt lgkmcnt(2)
	v_div_scale_f64 v[26:27], s[6:7], v[10:11], v[10:11], v[8:9]
	v_rcp_f64_e32 v[28:29], v[26:27]
	v_lshlrev_b32_e32 v37, 3, v24
	v_div_scale_f64 v[30:31], vcc, v[8:9], v[10:11], v[8:9]
	v_fma_f64 v[22:23], -v[26:27], v[28:29], 1.0
	v_fmac_f64_e32 v[28:29], v[28:29], v[22:23]
	v_fma_f64 v[22:23], -v[26:27], v[28:29], 1.0
	v_fmac_f64_e32 v[28:29], v[28:29], v[22:23]
	ds_read2st64_b64 v[22:25], v37 offset1:8
	v_mul_f64 v[32:33], v[30:31], v[28:29]
	v_fma_f64 v[26:27], -v[26:27], v[32:33], v[30:31]
	v_div_fmas_f64 v[26:27], v[26:27], v[28:29], v[32:33]
	v_div_fixup_f64 v[26:27], v[26:27], v[10:11], v[8:9]
	s_waitcnt lgkmcnt(0)
	v_div_scale_f64 v[30:31], s[6:7], v[24:25], v[24:25], v[16:17]
	v_rcp_f64_e32 v[34:35], v[30:31]
	v_fma_f64 v[12:13], -v[26:27], v[14:15], v[12:13]
	v_fma_f64 v[14:15], -v[26:27], v[18:19], v[20:21]
	v_add_u32_e32 v36, -8, v3
	v_fma_f64 v[8:9], -v[30:31], v[34:35], 1.0
	v_fmac_f64_e32 v[34:35], v[34:35], v[8:9]
	v_fma_f64 v[8:9], -v[30:31], v[34:35], 1.0
	v_fmac_f64_e32 v[34:35], v[34:35], v[8:9]
	v_div_scale_f64 v[8:9], vcc, v[16:17], v[24:25], v[16:17]
	v_mul_f64 v[10:11], v[8:9], v[34:35]
	v_fma_f64 v[8:9], -v[30:31], v[10:11], v[8:9]
	v_mul_f64 v[6:7], v[26:27], -v[6:7]
	s_nop 0
	v_div_fmas_f64 v[28:29], v[8:9], v[34:35], v[10:11]
	ds_read2st64_b64 v[8:11], v37 offset0:16 offset1:32
	v_div_fixup_f64 v[16:17], v[28:29], v[24:25], v[16:17]
	v_fma_f64 v[12:13], -v[16:17], v[22:23], v[12:13]
	ds_write_b64 v36, v[6:7]
	s_waitcnt lgkmcnt(1)
	v_fma_f64 v[10:11], -v[16:17], v[10:11], v[14:15]
	ds_write_b64 v3, v[10:11] offset:16376
	v_mul_f64 v[6:7], v[16:17], -v[8:9]
	v_add_u32_e32 v3, 0x1f8, v3
	ds_write2st64_b64 v3, v[12:13], v[6:7] offset0:7 offset1:15
.LBB39_2:
	s_or_b64 exec, exec, s[4:5]
	s_movk_i32 s2, 0x80
	v_cmp_gt_u32_e64 s[4:5], s2, v0
	s_waitcnt lgkmcnt(0)
	s_barrier
	s_and_saveexec_b64 s[6:7], s[4:5]
	s_cbranch_execz .LBB39_4
; %bb.3:
	v_lshlrev_b32_e32 v3, 5, v2
	v_add_u32_e32 v32, -8, v3
	v_add_u32_e32 v6, 0x800, v3
	ds_read_b64 v[18:19], v32
	ds_read2_b64 v[6:9], v6 offset0:253 offset1:255
	v_subrev_u32_e32 v10, 24, v3
	ds_read_b64 v[26:27], v10
	v_lshl_or_b32 v10, v2, 2, 1
	v_min_u32_e32 v14, 0x1ff, v10
	s_waitcnt lgkmcnt(1)
	v_div_scale_f64 v[20:21], s[8:9], v[6:7], v[6:7], v[18:19]
	v_rcp_f64_e32 v[22:23], v[20:21]
	v_lshlrev_b32_e32 v33, 3, v14
	ds_read2st64_b64 v[14:17], v33 offset1:8
	v_div_scale_f64 v[24:25], vcc, v[18:19], v[6:7], v[18:19]
	v_fma_f64 v[10:11], -v[20:21], v[22:23], 1.0
	v_fmac_f64_e32 v[22:23], v[22:23], v[10:11]
	v_fma_f64 v[10:11], -v[20:21], v[22:23], 1.0
	v_fmac_f64_e32 v[22:23], v[22:23], v[10:11]
	v_add_u32_e32 v10, 0x1800, v3
	ds_read2_b64 v[10:13], v10 offset0:253 offset1:255
	v_mul_f64 v[28:29], v[24:25], v[22:23]
	v_fma_f64 v[20:21], -v[20:21], v[28:29], v[24:25]
	v_div_fmas_f64 v[20:21], v[20:21], v[22:23], v[28:29]
	v_div_fixup_f64 v[6:7], v[20:21], v[6:7], v[18:19]
	s_waitcnt lgkmcnt(0)
	v_div_scale_f64 v[24:25], s[8:9], v[16:17], v[16:17], v[12:13]
	v_rcp_f64_e32 v[30:31], v[24:25]
	v_fma_f64 v[8:9], -v[6:7], v[10:11], v[8:9]
	v_fma_f64 v[18:19], -v[24:25], v[30:31], 1.0
	v_fmac_f64_e32 v[30:31], v[30:31], v[18:19]
	v_fma_f64 v[18:19], -v[24:25], v[30:31], 1.0
	v_fmac_f64_e32 v[30:31], v[30:31], v[18:19]
	v_div_scale_f64 v[18:19], vcc, v[12:13], v[16:17], v[12:13]
	v_mul_f64 v[20:21], v[18:19], v[30:31]
	v_fma_f64 v[18:19], -v[24:25], v[20:21], v[18:19]
	s_nop 1
	v_div_fmas_f64 v[28:29], v[18:19], v[30:31], v[20:21]
	v_add_u32_e32 v18, 0x3800, v3
	ds_read2_b64 v[18:21], v18 offset0:253 offset1:255
	ds_read2st64_b64 v[22:25], v33 offset0:16 offset1:32
	v_div_fixup_f64 v[12:13], v[28:29], v[16:17], v[12:13]
	v_fma_f64 v[8:9], -v[12:13], v[14:15], v[8:9]
	s_waitcnt lgkmcnt(1)
	v_fma_f64 v[10:11], -v[6:7], v[18:19], v[20:21]
	s_waitcnt lgkmcnt(0)
	v_fma_f64 v[10:11], -v[12:13], v[24:25], v[10:11]
	v_mul_f64 v[6:7], v[6:7], -v[26:27]
	ds_write_b64 v3, v[10:11] offset:16376
	ds_write_b64 v32, v[6:7]
	v_mul_f64 v[6:7], v[12:13], -v[22:23]
	v_add_u32_e32 v3, 0x1f8, v3
	ds_write2st64_b64 v3, v[8:9], v[6:7] offset0:7 offset1:15
.LBB39_4:
	s_or_b64 exec, exec, s[6:7]
	v_cmp_gt_u32_e64 s[6:7], 64, v0
	s_waitcnt lgkmcnt(0)
	s_barrier
	s_and_saveexec_b64 s[8:9], s[6:7]
	s_cbranch_execz .LBB39_6
; %bb.5:
	v_lshlrev_b32_e32 v3, 6, v2
	v_add_u32_e32 v32, -8, v3
	v_add_u32_e32 v6, 0x800, v3
	ds_read_b64 v[18:19], v32
	ds_read2_b64 v[6:9], v6 offset0:251 offset1:255
	v_subrev_u32_e32 v10, 40, v3
	ds_read_b64 v[26:27], v10
	v_lshl_or_b32 v10, v2, 3, 3
	v_min_u32_e32 v14, 0x1ff, v10
	s_waitcnt lgkmcnt(1)
	v_div_scale_f64 v[20:21], s[10:11], v[6:7], v[6:7], v[18:19]
	v_rcp_f64_e32 v[22:23], v[20:21]
	v_lshlrev_b32_e32 v33, 3, v14
	ds_read2st64_b64 v[14:17], v33 offset1:8
	v_div_scale_f64 v[24:25], vcc, v[18:19], v[6:7], v[18:19]
	v_fma_f64 v[10:11], -v[20:21], v[22:23], 1.0
	v_fmac_f64_e32 v[22:23], v[22:23], v[10:11]
	v_fma_f64 v[10:11], -v[20:21], v[22:23], 1.0
	v_fmac_f64_e32 v[22:23], v[22:23], v[10:11]
	v_add_u32_e32 v10, 0x1800, v3
	ds_read2_b64 v[10:13], v10 offset0:251 offset1:255
	v_mul_f64 v[28:29], v[24:25], v[22:23]
	v_fma_f64 v[20:21], -v[20:21], v[28:29], v[24:25]
	v_div_fmas_f64 v[20:21], v[20:21], v[22:23], v[28:29]
	v_div_fixup_f64 v[6:7], v[20:21], v[6:7], v[18:19]
	s_waitcnt lgkmcnt(0)
	v_div_scale_f64 v[24:25], s[10:11], v[16:17], v[16:17], v[12:13]
	v_rcp_f64_e32 v[30:31], v[24:25]
	v_fma_f64 v[8:9], -v[6:7], v[10:11], v[8:9]
	v_fma_f64 v[18:19], -v[24:25], v[30:31], 1.0
	v_fmac_f64_e32 v[30:31], v[30:31], v[18:19]
	v_fma_f64 v[18:19], -v[24:25], v[30:31], 1.0
	v_fmac_f64_e32 v[30:31], v[30:31], v[18:19]
	v_div_scale_f64 v[18:19], vcc, v[12:13], v[16:17], v[12:13]
	v_mul_f64 v[20:21], v[18:19], v[30:31]
	v_fma_f64 v[18:19], -v[24:25], v[20:21], v[18:19]
	s_nop 1
	v_div_fmas_f64 v[28:29], v[18:19], v[30:31], v[20:21]
	v_add_u32_e32 v18, 0x3800, v3
	ds_read2_b64 v[18:21], v18 offset0:251 offset1:255
	ds_read2st64_b64 v[22:25], v33 offset0:16 offset1:32
	v_div_fixup_f64 v[12:13], v[28:29], v[16:17], v[12:13]
	v_fma_f64 v[8:9], -v[12:13], v[14:15], v[8:9]
	s_waitcnt lgkmcnt(1)
	v_fma_f64 v[10:11], -v[6:7], v[18:19], v[20:21]
	s_waitcnt lgkmcnt(0)
	v_fma_f64 v[10:11], -v[12:13], v[24:25], v[10:11]
	v_mul_f64 v[6:7], v[6:7], -v[26:27]
	ds_write_b64 v3, v[10:11] offset:16376
	ds_write_b64 v32, v[6:7]
	v_mul_f64 v[6:7], v[12:13], -v[22:23]
	v_add_u32_e32 v3, 0x1f8, v3
	ds_write2st64_b64 v3, v[8:9], v[6:7] offset0:7 offset1:15
.LBB39_6:
	s_or_b64 exec, exec, s[8:9]
	v_cmp_gt_u32_e64 s[8:9], 32, v0
	s_waitcnt lgkmcnt(0)
	s_barrier
	s_and_saveexec_b64 s[10:11], s[8:9]
	s_cbranch_execz .LBB39_8
; %bb.7:
	v_lshlrev_b32_e32 v3, 7, v2
	v_add_u32_e32 v32, -8, v3
	v_add_u32_e32 v6, 0x800, v3
	ds_read_b64 v[18:19], v32
	ds_read2_b64 v[6:9], v6 offset0:247 offset1:255
	v_add_u32_e32 v10, 0xffffffb8, v3
	ds_read_b64 v[26:27], v10
	v_lshl_or_b32 v10, v2, 4, 7
	v_min_u32_e32 v14, 0x1ff, v10
	s_waitcnt lgkmcnt(1)
	v_div_scale_f64 v[20:21], s[12:13], v[6:7], v[6:7], v[18:19]
	v_rcp_f64_e32 v[22:23], v[20:21]
	v_lshlrev_b32_e32 v33, 3, v14
	ds_read2st64_b64 v[14:17], v33 offset1:8
	v_div_scale_f64 v[24:25], vcc, v[18:19], v[6:7], v[18:19]
	v_fma_f64 v[10:11], -v[20:21], v[22:23], 1.0
	v_fmac_f64_e32 v[22:23], v[22:23], v[10:11]
	v_fma_f64 v[10:11], -v[20:21], v[22:23], 1.0
	v_fmac_f64_e32 v[22:23], v[22:23], v[10:11]
	v_add_u32_e32 v10, 0x1800, v3
	ds_read2_b64 v[10:13], v10 offset0:247 offset1:255
	v_mul_f64 v[28:29], v[24:25], v[22:23]
	v_fma_f64 v[20:21], -v[20:21], v[28:29], v[24:25]
	v_div_fmas_f64 v[20:21], v[20:21], v[22:23], v[28:29]
	v_div_fixup_f64 v[6:7], v[20:21], v[6:7], v[18:19]
	s_waitcnt lgkmcnt(0)
	v_div_scale_f64 v[24:25], s[12:13], v[16:17], v[16:17], v[12:13]
	v_rcp_f64_e32 v[30:31], v[24:25]
	v_fma_f64 v[8:9], -v[6:7], v[10:11], v[8:9]
	v_fma_f64 v[18:19], -v[24:25], v[30:31], 1.0
	v_fmac_f64_e32 v[30:31], v[30:31], v[18:19]
	v_fma_f64 v[18:19], -v[24:25], v[30:31], 1.0
	v_fmac_f64_e32 v[30:31], v[30:31], v[18:19]
	v_div_scale_f64 v[18:19], vcc, v[12:13], v[16:17], v[12:13]
	v_mul_f64 v[20:21], v[18:19], v[30:31]
	v_fma_f64 v[18:19], -v[24:25], v[20:21], v[18:19]
	s_nop 1
	v_div_fmas_f64 v[28:29], v[18:19], v[30:31], v[20:21]
	v_add_u32_e32 v18, 0x3800, v3
	ds_read2_b64 v[18:21], v18 offset0:247 offset1:255
	ds_read2st64_b64 v[22:25], v33 offset0:16 offset1:32
	v_div_fixup_f64 v[12:13], v[28:29], v[16:17], v[12:13]
	v_fma_f64 v[8:9], -v[12:13], v[14:15], v[8:9]
	s_waitcnt lgkmcnt(1)
	v_fma_f64 v[10:11], -v[6:7], v[18:19], v[20:21]
	s_waitcnt lgkmcnt(0)
	v_fma_f64 v[10:11], -v[12:13], v[24:25], v[10:11]
	v_mul_f64 v[6:7], v[6:7], -v[26:27]
	ds_write_b64 v3, v[10:11] offset:16376
	ds_write_b64 v32, v[6:7]
	v_mul_f64 v[6:7], v[12:13], -v[22:23]
	v_add_u32_e32 v3, 0x1f8, v3
	ds_write2st64_b64 v3, v[8:9], v[6:7] offset0:7 offset1:15
.LBB39_8:
	s_or_b64 exec, exec, s[10:11]
	v_cmp_gt_u32_e64 s[10:11], 16, v0
	s_waitcnt lgkmcnt(0)
	s_barrier
	s_and_saveexec_b64 s[12:13], s[10:11]
	s_cbranch_execz .LBB39_10
; %bb.9:
	v_lshlrev_b32_e32 v3, 8, v2
	v_add_u32_e32 v32, -8, v3
	v_add_u32_e32 v6, 0x800, v3
	ds_read_b64 v[18:19], v32
	ds_read2_b64 v[6:9], v6 offset0:239 offset1:255
	v_add_u32_e32 v10, 0xffffff78, v3
	ds_read_b64 v[26:27], v10
	v_lshl_or_b32 v10, v2, 5, 15
	v_min_u32_e32 v14, 0x1ff, v10
	s_waitcnt lgkmcnt(1)
	v_div_scale_f64 v[20:21], s[14:15], v[6:7], v[6:7], v[18:19]
	v_rcp_f64_e32 v[22:23], v[20:21]
	v_lshlrev_b32_e32 v33, 3, v14
	ds_read2st64_b64 v[14:17], v33 offset1:8
	v_div_scale_f64 v[24:25], vcc, v[18:19], v[6:7], v[18:19]
	v_fma_f64 v[10:11], -v[20:21], v[22:23], 1.0
	v_fmac_f64_e32 v[22:23], v[22:23], v[10:11]
	v_fma_f64 v[10:11], -v[20:21], v[22:23], 1.0
	v_fmac_f64_e32 v[22:23], v[22:23], v[10:11]
	v_add_u32_e32 v10, 0x1800, v3
	ds_read2_b64 v[10:13], v10 offset0:239 offset1:255
	v_mul_f64 v[28:29], v[24:25], v[22:23]
	v_fma_f64 v[20:21], -v[20:21], v[28:29], v[24:25]
	v_div_fmas_f64 v[20:21], v[20:21], v[22:23], v[28:29]
	v_div_fixup_f64 v[6:7], v[20:21], v[6:7], v[18:19]
	s_waitcnt lgkmcnt(0)
	v_div_scale_f64 v[24:25], s[14:15], v[16:17], v[16:17], v[12:13]
	v_rcp_f64_e32 v[30:31], v[24:25]
	v_fma_f64 v[8:9], -v[6:7], v[10:11], v[8:9]
	v_fma_f64 v[18:19], -v[24:25], v[30:31], 1.0
	v_fmac_f64_e32 v[30:31], v[30:31], v[18:19]
	v_fma_f64 v[18:19], -v[24:25], v[30:31], 1.0
	v_fmac_f64_e32 v[30:31], v[30:31], v[18:19]
	v_div_scale_f64 v[18:19], vcc, v[12:13], v[16:17], v[12:13]
	v_mul_f64 v[20:21], v[18:19], v[30:31]
	v_fma_f64 v[18:19], -v[24:25], v[20:21], v[18:19]
	s_nop 1
	v_div_fmas_f64 v[28:29], v[18:19], v[30:31], v[20:21]
	v_add_u32_e32 v18, 0x3800, v3
	ds_read2_b64 v[18:21], v18 offset0:239 offset1:255
	ds_read2st64_b64 v[22:25], v33 offset0:16 offset1:32
	v_div_fixup_f64 v[12:13], v[28:29], v[16:17], v[12:13]
	v_fma_f64 v[8:9], -v[12:13], v[14:15], v[8:9]
	s_waitcnt lgkmcnt(1)
	v_fma_f64 v[10:11], -v[6:7], v[18:19], v[20:21]
	s_waitcnt lgkmcnt(0)
	v_fma_f64 v[10:11], -v[12:13], v[24:25], v[10:11]
	v_mul_f64 v[6:7], v[6:7], -v[26:27]
	ds_write_b64 v3, v[10:11] offset:16376
	ds_write_b64 v32, v[6:7]
	v_mul_f64 v[6:7], v[12:13], -v[22:23]
	v_add_u32_e32 v3, 0x1f8, v3
	ds_write2st64_b64 v3, v[8:9], v[6:7] offset0:7 offset1:15
.LBB39_10:
	;; [unrolled: 61-line block ×3, first 2 shown]
	s_or_b64 exec, exec, s[14:15]
	v_cmp_gt_u32_e64 s[16:17], 4, v0
	s_waitcnt lgkmcnt(0)
	s_barrier
	s_and_saveexec_b64 s[14:15], s[16:17]
	s_cbranch_execz .LBB39_14
; %bb.13:
	v_lshlrev_b32_e32 v3, 10, v2
	v_add_u32_e32 v32, -8, v3
	v_add_u32_e32 v33, 0x1f8, v3
	ds_read_b64 v[18:19], v32
	ds_read2st64_b64 v[6:9], v33 offset0:6 offset1:7
	v_add_u32_e32 v14, 0xfffffdf8, v3
	ds_read2st64_b64 v[10:13], v33 offset0:14 offset1:15
	ds_read_b64 v[26:27], v14
	v_lshl_or_b32 v14, v2, 7, 63
	v_min_u32_e32 v16, 0x1ff, v14
	s_waitcnt lgkmcnt(2)
	v_div_scale_f64 v[20:21], s[18:19], v[6:7], v[6:7], v[18:19]
	v_rcp_f64_e32 v[22:23], v[20:21]
	v_lshlrev_b32_e32 v34, 3, v16
	v_div_scale_f64 v[24:25], vcc, v[18:19], v[6:7], v[18:19]
	v_fma_f64 v[14:15], -v[20:21], v[22:23], 1.0
	v_fmac_f64_e32 v[22:23], v[22:23], v[14:15]
	v_fma_f64 v[14:15], -v[20:21], v[22:23], 1.0
	v_fmac_f64_e32 v[22:23], v[22:23], v[14:15]
	ds_read2st64_b64 v[14:17], v34 offset1:8
	v_mul_f64 v[28:29], v[24:25], v[22:23]
	v_fma_f64 v[20:21], -v[20:21], v[28:29], v[24:25]
	v_div_fmas_f64 v[20:21], v[20:21], v[22:23], v[28:29]
	v_div_fixup_f64 v[6:7], v[20:21], v[6:7], v[18:19]
	s_waitcnt lgkmcnt(0)
	v_div_scale_f64 v[24:25], s[18:19], v[16:17], v[16:17], v[12:13]
	v_rcp_f64_e32 v[30:31], v[24:25]
	v_fma_f64 v[8:9], -v[6:7], v[10:11], v[8:9]
	v_fma_f64 v[18:19], -v[24:25], v[30:31], 1.0
	v_fmac_f64_e32 v[30:31], v[30:31], v[18:19]
	v_fma_f64 v[18:19], -v[24:25], v[30:31], 1.0
	v_fmac_f64_e32 v[30:31], v[30:31], v[18:19]
	v_div_scale_f64 v[18:19], vcc, v[12:13], v[16:17], v[12:13]
	v_mul_f64 v[20:21], v[18:19], v[30:31]
	v_fma_f64 v[18:19], -v[24:25], v[20:21], v[18:19]
	s_nop 1
	v_div_fmas_f64 v[28:29], v[18:19], v[30:31], v[20:21]
	ds_read2st64_b64 v[18:21], v33 offset0:30 offset1:31
	ds_read2st64_b64 v[22:25], v34 offset0:16 offset1:32
	v_div_fixup_f64 v[12:13], v[28:29], v[16:17], v[12:13]
	v_fma_f64 v[8:9], -v[12:13], v[14:15], v[8:9]
	s_waitcnt lgkmcnt(1)
	v_fma_f64 v[10:11], -v[6:7], v[18:19], v[20:21]
	v_mul_f64 v[6:7], v[6:7], -v[26:27]
	s_waitcnt lgkmcnt(0)
	v_fma_f64 v[10:11], -v[12:13], v[24:25], v[10:11]
	ds_write_b64 v32, v[6:7]
	v_mul_f64 v[6:7], v[12:13], -v[22:23]
	ds_write_b64 v3, v[10:11] offset:16376
	ds_write2st64_b64 v33, v[8:9], v[6:7] offset0:7 offset1:15
.LBB39_14:
	s_or_b64 exec, exec, s[14:15]
	v_cmp_gt_u32_e64 s[18:19], 2, v0
	s_waitcnt lgkmcnt(0)
	s_barrier
	s_and_saveexec_b64 s[14:15], s[18:19]
	s_cbranch_execz .LBB39_16
; %bb.15:
	v_lshlrev_b32_e32 v30, 11, v2
	v_add_u32_e32 v31, -8, v30
	v_add_u32_e32 v32, 0x1f8, v30
	ds_read_b64 v[18:19], v31
	ds_read2st64_b64 v[6:9], v32 offset0:5 offset1:7
	v_add_u32_e32 v3, 0xfffffbf8, v30
	ds_read_b64 v[26:27], v3
	v_mov_b32_e32 v3, 0x7f
	v_lshl_or_b32 v2, v2, 8, v3
	s_waitcnt lgkmcnt(1)
	v_div_scale_f64 v[20:21], s[22:23], v[6:7], v[6:7], v[18:19]
	v_rcp_f64_e32 v[22:23], v[20:21]
	v_min_u32_e32 v14, 0x1ff, v2
	v_lshlrev_b32_e32 v33, 3, v14
	ds_read2st64_b64 v[10:13], v32 offset0:13 offset1:15
	v_fma_f64 v[2:3], -v[20:21], v[22:23], 1.0
	ds_read2st64_b64 v[14:17], v33 offset1:8
	v_fmac_f64_e32 v[22:23], v[22:23], v[2:3]
	v_fma_f64 v[2:3], -v[20:21], v[22:23], 1.0
	v_fmac_f64_e32 v[22:23], v[22:23], v[2:3]
	v_div_scale_f64 v[2:3], vcc, v[18:19], v[6:7], v[18:19]
	v_mul_f64 v[24:25], v[2:3], v[22:23]
	v_fma_f64 v[2:3], -v[20:21], v[24:25], v[2:3]
	s_waitcnt lgkmcnt(0)
	v_div_scale_f64 v[20:21], s[22:23], v[16:17], v[16:17], v[12:13]
	v_rcp_f64_e32 v[28:29], v[20:21]
	v_div_fmas_f64 v[2:3], v[2:3], v[22:23], v[24:25]
	v_div_fixup_f64 v[2:3], v[2:3], v[6:7], v[18:19]
	v_fma_f64 v[8:9], -v[2:3], v[10:11], v[8:9]
	v_fma_f64 v[6:7], -v[20:21], v[28:29], 1.0
	v_fmac_f64_e32 v[28:29], v[28:29], v[6:7]
	v_fma_f64 v[6:7], -v[20:21], v[28:29], 1.0
	v_fmac_f64_e32 v[28:29], v[28:29], v[6:7]
	v_div_scale_f64 v[6:7], vcc, v[12:13], v[16:17], v[12:13]
	v_mul_f64 v[18:19], v[6:7], v[28:29]
	v_fma_f64 v[6:7], -v[20:21], v[18:19], v[6:7]
	s_nop 1
	v_div_fmas_f64 v[6:7], v[6:7], v[28:29], v[18:19]
	ds_read2st64_b64 v[18:21], v32 offset0:29 offset1:31
	ds_read2st64_b64 v[22:25], v33 offset0:16 offset1:32
	v_div_fixup_f64 v[6:7], v[6:7], v[16:17], v[12:13]
	v_fma_f64 v[8:9], -v[6:7], v[14:15], v[8:9]
	s_waitcnt lgkmcnt(1)
	v_fma_f64 v[10:11], -v[2:3], v[18:19], v[20:21]
	v_mul_f64 v[2:3], v[2:3], -v[26:27]
	s_waitcnt lgkmcnt(0)
	v_fma_f64 v[10:11], -v[6:7], v[24:25], v[10:11]
	ds_write_b64 v31, v[2:3]
	v_mul_f64 v[2:3], v[6:7], -v[22:23]
	ds_write_b64 v30, v[10:11] offset:16376
	ds_write2st64_b64 v32, v[8:9], v[2:3] offset0:7 offset1:15
.LBB39_16:
	s_or_b64 exec, exec, s[14:15]
	v_cmp_ne_u32_e64 s[14:15], 0, v0
	v_cmp_eq_u32_e32 vcc, 0, v0
	s_waitcnt lgkmcnt(0)
	s_barrier
	s_and_saveexec_b64 s[22:23], vcc
	s_cbranch_execz .LBB39_18
; %bb.17:
	s_movk_i32 s2, 0x1f8
	v_add_u32_e64 v26, s2, 0
	ds_read2st64_b64 v[6:9], v26 offset0:15 offset1:19
	ds_read2st64_b64 v[10:13], v26 offset0:7 offset1:11
	;; [unrolled: 1-line block ×3, first 2 shown]
	s_waitcnt lgkmcnt(1)
	v_mul_f64 v[2:3], v[8:9], v[10:11]
	v_fma_f64 v[2:3], v[6:7], v[12:13], -v[2:3]
	v_div_scale_f64 v[18:19], s[24:25], v[2:3], v[2:3], 1.0
	v_rcp_f64_e32 v[20:21], v[18:19]
	v_div_scale_f64 v[22:23], vcc, 1.0, v[2:3], 1.0
	s_waitcnt lgkmcnt(0)
	v_mul_f64 v[8:9], v[8:9], v[16:17]
	v_fma_f64 v[24:25], -v[18:19], v[20:21], 1.0
	v_fmac_f64_e32 v[20:21], v[20:21], v[24:25]
	v_fma_f64 v[24:25], -v[18:19], v[20:21], 1.0
	v_fmac_f64_e32 v[20:21], v[20:21], v[24:25]
	v_mul_f64 v[24:25], v[22:23], v[20:21]
	v_fma_f64 v[18:19], -v[18:19], v[24:25], v[22:23]
	v_div_fmas_f64 v[18:19], v[18:19], v[20:21], v[24:25]
	v_fma_f64 v[6:7], v[6:7], v[14:15], -v[8:9]
	v_mul_f64 v[8:9], v[10:11], v[14:15]
	v_div_fixup_f64 v[2:3], v[18:19], v[2:3], 1.0
	v_fma_f64 v[8:9], v[12:13], v[16:17], -v[8:9]
	v_mul_f64 v[6:7], v[2:3], v[6:7]
	v_mul_f64 v[2:3], v[2:3], v[8:9]
	ds_write2st64_b64 v26, v[6:7], v[2:3] offset0:27 offset1:31
.LBB39_18:
	s_or_b64 exec, exec, s[22:23]
	s_load_dwordx2 s[22:23], s[0:1], 0x30
	v_lshlrev_b32_e32 v7, 8, v0
	s_waitcnt lgkmcnt(0)
	s_barrier
	s_and_saveexec_b64 s[24:25], s[18:19]
	s_cbranch_execz .LBB39_22
; %bb.19:
	v_lshlrev_b32_e32 v2, 11, v0
	ds_read_b64 v[2:3], v2 offset:17400
	v_lshlrev_b32_e32 v6, 3, v7
	s_and_saveexec_b64 s[18:19], s[14:15]
	s_cbranch_execz .LBB39_21
; %bb.20:
	v_add_u32_e32 v8, 0x1f8, v6
	ds_read2st64_b64 v[8:11], v8 offset0:1 offset1:23
	s_waitcnt lgkmcnt(0)
	v_fma_f64 v[2:3], -v[8:9], v[10:11], v[2:3]
.LBB39_21:
	s_or_b64 exec, exec, s[18:19]
	v_add_u32_e32 v8, 0x1f8, v6
	ds_read_b64 v[12:13], v6 offset:14328
	ds_read2st64_b64 v[8:11], v8 offset0:9 offset1:17
	s_waitcnt lgkmcnt(0)
	v_fma_f64 v[2:3], -v[10:11], v[12:13], v[2:3]
	v_div_scale_f64 v[10:11], s[18:19], v[8:9], v[8:9], v[2:3]
	v_rcp_f64_e32 v[12:13], v[10:11]
	v_div_scale_f64 v[14:15], vcc, v[2:3], v[8:9], v[2:3]
	v_fma_f64 v[16:17], -v[10:11], v[12:13], 1.0
	v_fmac_f64_e32 v[12:13], v[12:13], v[16:17]
	v_fma_f64 v[16:17], -v[10:11], v[12:13], 1.0
	v_fmac_f64_e32 v[12:13], v[12:13], v[16:17]
	v_mul_f64 v[16:17], v[14:15], v[12:13]
	v_fma_f64 v[10:11], -v[10:11], v[16:17], v[14:15]
	v_div_fmas_f64 v[10:11], v[10:11], v[12:13], v[16:17]
	v_div_fixup_f64 v[2:3], v[10:11], v[8:9], v[2:3]
	ds_write_b64 v6, v[2:3] offset:13304
.LBB39_22:
	s_or_b64 exec, exec, s[24:25]
	v_or_b32_e32 v6, 0x3000, v5
	v_lshlrev_b32_e32 v8, 7, v0
	s_waitcnt lgkmcnt(0)
	s_barrier
	s_and_saveexec_b64 s[18:19], s[16:17]
	s_cbranch_execz .LBB39_26
; %bb.23:
	v_lshlrev_b32_e32 v2, 10, v0
	ds_read_b64 v[2:3], v2 offset:16888
	v_lshlrev_b32_e32 v9, 3, v8
	s_and_saveexec_b64 s[16:17], s[14:15]
	s_cbranch_execz .LBB39_25
; %bb.24:
	v_add_u32_e32 v10, 0x1f8, v9
	ds_read2st64_b64 v[10:13], v10 offset1:23
	s_waitcnt lgkmcnt(0)
	v_fma_f64 v[2:3], -v[10:11], v[12:13], v[2:3]
.LBB39_25:
	s_or_b64 exec, exec, s[16:17]
	v_add_u32_e32 v10, 0x1f8, v9
	ds_read_b64 v[14:15], v9 offset:13304
	ds_read2st64_b64 v[10:13], v10 offset0:8 offset1:16
	s_waitcnt lgkmcnt(0)
	v_fma_f64 v[2:3], -v[12:13], v[14:15], v[2:3]
	v_div_scale_f64 v[12:13], s[16:17], v[10:11], v[10:11], v[2:3]
	v_rcp_f64_e32 v[14:15], v[12:13]
	v_div_scale_f64 v[16:17], vcc, v[2:3], v[10:11], v[2:3]
	v_fma_f64 v[18:19], -v[12:13], v[14:15], 1.0
	v_fmac_f64_e32 v[14:15], v[14:15], v[18:19]
	v_fma_f64 v[18:19], -v[12:13], v[14:15], 1.0
	v_fmac_f64_e32 v[14:15], v[14:15], v[18:19]
	v_mul_f64 v[18:19], v[16:17], v[14:15]
	v_fma_f64 v[12:13], -v[12:13], v[18:19], v[16:17]
	v_div_fmas_f64 v[12:13], v[12:13], v[14:15], v[18:19]
	v_div_fixup_f64 v[2:3], v[12:13], v[10:11], v[2:3]
	ds_write_b64 v9, v[2:3] offset:12792
.LBB39_26:
	s_or_b64 exec, exec, s[18:19]
	v_lshlrev_b32_e32 v9, 6, v0
	s_waitcnt lgkmcnt(0)
	s_barrier
	s_and_saveexec_b64 s[16:17], s[12:13]
	s_cbranch_execz .LBB39_30
; %bb.27:
	v_lshlrev_b32_e32 v2, 9, v0
	ds_read_b64 v[2:3], v2 offset:16632
	v_lshlrev_b32_e32 v10, 3, v9
	s_and_saveexec_b64 s[12:13], s[14:15]
	s_cbranch_execz .LBB39_29
; %bb.28:
	ds_read_b64 v[12:13], v10 offset:248
	ds_read_b64 v[14:15], v10 offset:12280
	s_waitcnt lgkmcnt(0)
	v_fma_f64 v[2:3], -v[12:13], v[14:15], v[2:3]
.LBB39_29:
	s_or_b64 exec, exec, s[12:13]
	v_add_u32_e32 v11, 0xf8, v10
	ds_read_b64 v[16:17], v10 offset:12792
	ds_read2st64_b64 v[12:15], v11 offset0:8 offset1:16
	s_waitcnt lgkmcnt(0)
	v_fma_f64 v[2:3], -v[14:15], v[16:17], v[2:3]
	v_div_scale_f64 v[14:15], s[12:13], v[12:13], v[12:13], v[2:3]
	v_rcp_f64_e32 v[16:17], v[14:15]
	v_div_scale_f64 v[18:19], vcc, v[2:3], v[12:13], v[2:3]
	v_fma_f64 v[20:21], -v[14:15], v[16:17], 1.0
	v_fmac_f64_e32 v[16:17], v[16:17], v[20:21]
	v_fma_f64 v[20:21], -v[14:15], v[16:17], 1.0
	v_fmac_f64_e32 v[16:17], v[16:17], v[20:21]
	v_mul_f64 v[20:21], v[18:19], v[16:17]
	v_fma_f64 v[14:15], -v[14:15], v[20:21], v[18:19]
	v_div_fmas_f64 v[14:15], v[14:15], v[16:17], v[20:21]
	v_div_fixup_f64 v[2:3], v[14:15], v[12:13], v[2:3]
	ds_write_b64 v10, v[2:3] offset:12536
.LBB39_30:
	s_or_b64 exec, exec, s[16:17]
	v_lshlrev_b32_e32 v10, 5, v0
	s_waitcnt lgkmcnt(0)
	s_barrier
	s_and_saveexec_b64 s[12:13], s[10:11]
	s_cbranch_execz .LBB39_34
; %bb.31:
	ds_read_b64 v[2:3], v7 offset:16504
	v_lshlrev_b32_e32 v7, 3, v10
	s_and_saveexec_b64 s[10:11], s[14:15]
	s_cbranch_execz .LBB39_33
; %bb.32:
	ds_read_b64 v[12:13], v7 offset:120
	ds_read_b64 v[14:15], v7 offset:12280
	s_waitcnt lgkmcnt(0)
	v_fma_f64 v[2:3], -v[12:13], v[14:15], v[2:3]
.LBB39_33:
	s_or_b64 exec, exec, s[10:11]
	v_add_u32_e32 v11, 0x78, v7
	ds_read_b64 v[16:17], v7 offset:12536
	ds_read2st64_b64 v[12:15], v11 offset0:8 offset1:16
	s_waitcnt lgkmcnt(0)
	v_fma_f64 v[2:3], -v[14:15], v[16:17], v[2:3]
	v_div_scale_f64 v[14:15], s[10:11], v[12:13], v[12:13], v[2:3]
	v_rcp_f64_e32 v[16:17], v[14:15]
	v_div_scale_f64 v[18:19], vcc, v[2:3], v[12:13], v[2:3]
	v_fma_f64 v[20:21], -v[14:15], v[16:17], 1.0
	v_fmac_f64_e32 v[16:17], v[16:17], v[20:21]
	v_fma_f64 v[20:21], -v[14:15], v[16:17], 1.0
	v_fmac_f64_e32 v[16:17], v[16:17], v[20:21]
	v_mul_f64 v[20:21], v[18:19], v[16:17]
	v_fma_f64 v[14:15], -v[14:15], v[20:21], v[18:19]
	v_div_fmas_f64 v[14:15], v[14:15], v[16:17], v[20:21]
	v_div_fixup_f64 v[2:3], v[14:15], v[12:13], v[2:3]
	ds_write_b64 v7, v[2:3] offset:12408
.LBB39_34:
	s_or_b64 exec, exec, s[12:13]
	v_lshlrev_b32_e32 v7, 4, v0
	s_waitcnt lgkmcnt(0)
	s_barrier
	s_and_saveexec_b64 s[10:11], s[8:9]
	s_cbranch_execz .LBB39_38
; %bb.35:
	ds_read_b64 v[2:3], v8 offset:16440
	v_lshlrev_b32_e32 v8, 3, v7
	s_and_saveexec_b64 s[8:9], s[14:15]
	s_cbranch_execz .LBB39_37
; %bb.36:
	ds_read_b64 v[12:13], v8 offset:56
	ds_read_b64 v[14:15], v8 offset:12280
	s_waitcnt lgkmcnt(0)
	v_fma_f64 v[2:3], -v[12:13], v[14:15], v[2:3]
.LBB39_37:
	s_or_b64 exec, exec, s[8:9]
	v_add_u32_e32 v11, 56, v8
	ds_read_b64 v[16:17], v8 offset:12408
	ds_read2st64_b64 v[12:15], v11 offset0:8 offset1:16
	s_waitcnt lgkmcnt(0)
	v_fma_f64 v[2:3], -v[14:15], v[16:17], v[2:3]
	v_div_scale_f64 v[14:15], s[8:9], v[12:13], v[12:13], v[2:3]
	v_rcp_f64_e32 v[16:17], v[14:15]
	v_div_scale_f64 v[18:19], vcc, v[2:3], v[12:13], v[2:3]
	v_fma_f64 v[20:21], -v[14:15], v[16:17], 1.0
	v_fmac_f64_e32 v[16:17], v[16:17], v[20:21]
	v_fma_f64 v[20:21], -v[14:15], v[16:17], 1.0
	v_fmac_f64_e32 v[16:17], v[16:17], v[20:21]
	v_mul_f64 v[20:21], v[18:19], v[16:17]
	v_fma_f64 v[14:15], -v[14:15], v[20:21], v[18:19]
	v_div_fmas_f64 v[14:15], v[14:15], v[16:17], v[20:21]
	v_div_fixup_f64 v[2:3], v[14:15], v[12:13], v[2:3]
	ds_write_b64 v8, v[2:3] offset:12344
.LBB39_38:
	s_or_b64 exec, exec, s[10:11]
	s_waitcnt lgkmcnt(0)
	s_barrier
	s_and_saveexec_b64 s[8:9], s[6:7]
	s_cbranch_execz .LBB39_42
; %bb.39:
	ds_read_b64 v[2:3], v9 offset:16408
	v_lshlrev_b32_e32 v5, 3, v5
	s_and_saveexec_b64 s[6:7], s[14:15]
	s_cbranch_execz .LBB39_41
; %bb.40:
	ds_read_b64 v[8:9], v5 offset:24
	ds_read_b64 v[12:13], v5 offset:12280
	s_waitcnt lgkmcnt(0)
	v_fma_f64 v[2:3], -v[8:9], v[12:13], v[2:3]
.LBB39_41:
	s_or_b64 exec, exec, s[6:7]
	v_add_u32_e32 v11, 24, v5
	ds_read_b64 v[8:9], v5 offset:12344
	ds_read2st64_b64 v[12:15], v11 offset0:8 offset1:16
	s_waitcnt lgkmcnt(0)
	v_fma_f64 v[2:3], -v[14:15], v[8:9], v[2:3]
	v_div_scale_f64 v[8:9], s[6:7], v[12:13], v[12:13], v[2:3]
	v_rcp_f64_e32 v[14:15], v[8:9]
	v_div_scale_f64 v[16:17], vcc, v[2:3], v[12:13], v[2:3]
	v_fma_f64 v[18:19], -v[8:9], v[14:15], 1.0
	v_fmac_f64_e32 v[14:15], v[14:15], v[18:19]
	v_fma_f64 v[18:19], -v[8:9], v[14:15], 1.0
	v_fmac_f64_e32 v[14:15], v[14:15], v[18:19]
	v_mul_f64 v[18:19], v[16:17], v[14:15]
	v_fma_f64 v[8:9], -v[8:9], v[18:19], v[16:17]
	v_div_fmas_f64 v[8:9], v[8:9], v[14:15], v[18:19]
	v_div_fixup_f64 v[2:3], v[8:9], v[12:13], v[2:3]
	ds_write_b64 v5, v[2:3] offset:12312
.LBB39_42:
	s_or_b64 exec, exec, s[8:9]
	s_waitcnt lgkmcnt(0)
	s_barrier
	s_and_saveexec_b64 s[6:7], s[4:5]
	s_cbranch_execz .LBB39_46
; %bb.43:
	ds_read_b64 v[2:3], v10 offset:16392
	v_lshlrev_b32_e32 v5, 2, v0
	v_lshlrev_b32_e32 v5, 3, v5
	s_and_saveexec_b64 s[4:5], s[14:15]
	s_cbranch_execz .LBB39_45
; %bb.44:
	ds_read_b64 v[8:9], v5 offset:8
	ds_read_b64 v[10:11], v5 offset:12280
	s_waitcnt lgkmcnt(0)
	v_fma_f64 v[2:3], -v[8:9], v[10:11], v[2:3]
.LBB39_45:
	s_or_b64 exec, exec, s[4:5]
	v_add_u32_e32 v8, 8, v5
	ds_read_b64 v[12:13], v5 offset:12312
	ds_read2st64_b64 v[8:11], v8 offset0:8 offset1:16
	s_waitcnt lgkmcnt(0)
	v_fma_f64 v[2:3], -v[10:11], v[12:13], v[2:3]
	v_div_scale_f64 v[10:11], s[4:5], v[8:9], v[8:9], v[2:3]
	v_rcp_f64_e32 v[12:13], v[10:11]
	v_div_scale_f64 v[14:15], vcc, v[2:3], v[8:9], v[2:3]
	v_fma_f64 v[16:17], -v[10:11], v[12:13], 1.0
	v_fmac_f64_e32 v[12:13], v[12:13], v[16:17]
	v_fma_f64 v[16:17], -v[10:11], v[12:13], 1.0
	v_fmac_f64_e32 v[12:13], v[12:13], v[16:17]
	v_mul_f64 v[16:17], v[14:15], v[12:13]
	v_fma_f64 v[10:11], -v[10:11], v[16:17], v[14:15]
	v_div_fmas_f64 v[10:11], v[10:11], v[12:13], v[16:17]
	v_div_fixup_f64 v[2:3], v[10:11], v[8:9], v[2:3]
	ds_write_b64 v5, v[2:3] offset:12296
.LBB39_46:
	s_or_b64 exec, exec, s[6:7]
	s_waitcnt lgkmcnt(0)
	s_barrier
	s_and_saveexec_b64 s[4:5], s[20:21]
	s_cbranch_execz .LBB39_50
; %bb.47:
	ds_read_b64 v[2:3], v7 offset:16384
	v_lshlrev_b32_e32 v0, 1, v0
	v_lshlrev_b32_e32 v0, 3, v0
	s_and_saveexec_b64 s[6:7], s[14:15]
	s_cbranch_execz .LBB39_49
; %bb.48:
	ds_read_b64 v[8:9], v0
	ds_read_b64 v[10:11], v0 offset:12280
	s_waitcnt lgkmcnt(0)
	v_fma_f64 v[2:3], -v[8:9], v[10:11], v[2:3]
.LBB39_49:
	s_or_b64 exec, exec, s[6:7]
	ds_read2st64_b64 v[8:11], v0 offset0:8 offset1:16
	ds_read_b64 v[12:13], v0 offset:12296
	s_waitcnt lgkmcnt(0)
	v_fma_f64 v[2:3], -v[10:11], v[12:13], v[2:3]
	v_div_scale_f64 v[10:11], s[6:7], v[8:9], v[8:9], v[2:3]
	v_rcp_f64_e32 v[12:13], v[10:11]
	v_div_scale_f64 v[14:15], vcc, v[2:3], v[8:9], v[2:3]
	v_fma_f64 v[16:17], -v[10:11], v[12:13], 1.0
	v_fmac_f64_e32 v[12:13], v[12:13], v[16:17]
	v_fma_f64 v[16:17], -v[10:11], v[12:13], 1.0
	v_fmac_f64_e32 v[12:13], v[12:13], v[16:17]
	v_mul_f64 v[16:17], v[14:15], v[12:13]
	v_fma_f64 v[10:11], -v[10:11], v[16:17], v[14:15]
	v_div_fmas_f64 v[10:11], v[10:11], v[12:13], v[16:17]
	v_div_fixup_f64 v[2:3], v[10:11], v[8:9], v[2:3]
	ds_write_b64 v0, v[2:3] offset:12288
.LBB39_50:
	s_or_b64 exec, exec, s[4:5]
	s_load_dword s0, s[0:1], 0x8
	s_waitcnt lgkmcnt(0)
	s_barrier
	ds_read2st64_b64 v[6:9], v6 offset1:4
	s_mul_i32 s0, s0, s3
	v_add_u32_e32 v0, s0, v1
	v_mov_b32_e32 v1, 0
	v_lshl_add_u64 v[2:3], v[0:1], 3, s[22:23]
	v_add_u32_e32 v0, s0, v4
	v_lshl_add_u64 v[0:1], v[0:1], 3, s[22:23]
	s_waitcnt lgkmcnt(0)
	global_store_dwordx2 v[2:3], v[6:7], off
	global_store_dwordx2 v[0:1], v[8:9], off
	s_endpgm
	.section	.rodata,"a",@progbits
	.p2align	6, 0x0
	.amdhsa_kernel _ZN9rocsparseL48gtsv_nopivot_strided_batch_cr_pow2_stage2_kernelILj256EdEEviiiPKT0_S3_S3_S3_PS1_
		.amdhsa_group_segment_fixed_size 20480
		.amdhsa_private_segment_fixed_size 0
		.amdhsa_kernarg_size 312
		.amdhsa_user_sgpr_count 2
		.amdhsa_user_sgpr_dispatch_ptr 0
		.amdhsa_user_sgpr_queue_ptr 0
		.amdhsa_user_sgpr_kernarg_segment_ptr 1
		.amdhsa_user_sgpr_dispatch_id 0
		.amdhsa_user_sgpr_kernarg_preload_length 0
		.amdhsa_user_sgpr_kernarg_preload_offset 0
		.amdhsa_user_sgpr_private_segment_size 0
		.amdhsa_uses_dynamic_stack 0
		.amdhsa_enable_private_segment 0
		.amdhsa_system_sgpr_workgroup_id_x 1
		.amdhsa_system_sgpr_workgroup_id_y 1
		.amdhsa_system_sgpr_workgroup_id_z 0
		.amdhsa_system_sgpr_workgroup_info 0
		.amdhsa_system_vgpr_workitem_id 0
		.amdhsa_next_free_vgpr 38
		.amdhsa_next_free_sgpr 26
		.amdhsa_accum_offset 40
		.amdhsa_reserve_vcc 1
		.amdhsa_float_round_mode_32 0
		.amdhsa_float_round_mode_16_64 0
		.amdhsa_float_denorm_mode_32 3
		.amdhsa_float_denorm_mode_16_64 3
		.amdhsa_dx10_clamp 1
		.amdhsa_ieee_mode 1
		.amdhsa_fp16_overflow 0
		.amdhsa_tg_split 0
		.amdhsa_exception_fp_ieee_invalid_op 0
		.amdhsa_exception_fp_denorm_src 0
		.amdhsa_exception_fp_ieee_div_zero 0
		.amdhsa_exception_fp_ieee_overflow 0
		.amdhsa_exception_fp_ieee_underflow 0
		.amdhsa_exception_fp_ieee_inexact 0
		.amdhsa_exception_int_div_zero 0
	.end_amdhsa_kernel
	.section	.text._ZN9rocsparseL48gtsv_nopivot_strided_batch_cr_pow2_stage2_kernelILj256EdEEviiiPKT0_S3_S3_S3_PS1_,"axG",@progbits,_ZN9rocsparseL48gtsv_nopivot_strided_batch_cr_pow2_stage2_kernelILj256EdEEviiiPKT0_S3_S3_S3_PS1_,comdat
.Lfunc_end39:
	.size	_ZN9rocsparseL48gtsv_nopivot_strided_batch_cr_pow2_stage2_kernelILj256EdEEviiiPKT0_S3_S3_S3_PS1_, .Lfunc_end39-_ZN9rocsparseL48gtsv_nopivot_strided_batch_cr_pow2_stage2_kernelILj256EdEEviiiPKT0_S3_S3_S3_PS1_
                                        ; -- End function
	.set _ZN9rocsparseL48gtsv_nopivot_strided_batch_cr_pow2_stage2_kernelILj256EdEEviiiPKT0_S3_S3_S3_PS1_.num_vgpr, 38
	.set _ZN9rocsparseL48gtsv_nopivot_strided_batch_cr_pow2_stage2_kernelILj256EdEEviiiPKT0_S3_S3_S3_PS1_.num_agpr, 0
	.set _ZN9rocsparseL48gtsv_nopivot_strided_batch_cr_pow2_stage2_kernelILj256EdEEviiiPKT0_S3_S3_S3_PS1_.numbered_sgpr, 26
	.set _ZN9rocsparseL48gtsv_nopivot_strided_batch_cr_pow2_stage2_kernelILj256EdEEviiiPKT0_S3_S3_S3_PS1_.num_named_barrier, 0
	.set _ZN9rocsparseL48gtsv_nopivot_strided_batch_cr_pow2_stage2_kernelILj256EdEEviiiPKT0_S3_S3_S3_PS1_.private_seg_size, 0
	.set _ZN9rocsparseL48gtsv_nopivot_strided_batch_cr_pow2_stage2_kernelILj256EdEEviiiPKT0_S3_S3_S3_PS1_.uses_vcc, 1
	.set _ZN9rocsparseL48gtsv_nopivot_strided_batch_cr_pow2_stage2_kernelILj256EdEEviiiPKT0_S3_S3_S3_PS1_.uses_flat_scratch, 0
	.set _ZN9rocsparseL48gtsv_nopivot_strided_batch_cr_pow2_stage2_kernelILj256EdEEviiiPKT0_S3_S3_S3_PS1_.has_dyn_sized_stack, 0
	.set _ZN9rocsparseL48gtsv_nopivot_strided_batch_cr_pow2_stage2_kernelILj256EdEEviiiPKT0_S3_S3_S3_PS1_.has_recursion, 0
	.set _ZN9rocsparseL48gtsv_nopivot_strided_batch_cr_pow2_stage2_kernelILj256EdEEviiiPKT0_S3_S3_S3_PS1_.has_indirect_call, 0
	.section	.AMDGPU.csdata,"",@progbits
; Kernel info:
; codeLenInByte = 5244
; TotalNumSgprs: 32
; NumVgprs: 38
; NumAgprs: 0
; TotalNumVgprs: 38
; ScratchSize: 0
; MemoryBound: 0
; FloatMode: 240
; IeeeMode: 1
; LDSByteSize: 20480 bytes/workgroup (compile time only)
; SGPRBlocks: 3
; VGPRBlocks: 4
; NumSGPRsForWavesPerEU: 32
; NumVGPRsForWavesPerEU: 38
; AccumOffset: 40
; Occupancy: 8
; WaveLimiterHint : 0
; COMPUTE_PGM_RSRC2:SCRATCH_EN: 0
; COMPUTE_PGM_RSRC2:USER_SGPR: 2
; COMPUTE_PGM_RSRC2:TRAP_HANDLER: 0
; COMPUTE_PGM_RSRC2:TGID_X_EN: 1
; COMPUTE_PGM_RSRC2:TGID_Y_EN: 1
; COMPUTE_PGM_RSRC2:TGID_Z_EN: 0
; COMPUTE_PGM_RSRC2:TIDIG_COMP_CNT: 0
; COMPUTE_PGM_RSRC3_GFX90A:ACCUM_OFFSET: 9
; COMPUTE_PGM_RSRC3_GFX90A:TG_SPLIT: 0
	.section	.text._ZN9rocsparseL44gtsv_nopivot_strided_batch_pcr_stage1_kernelILj256EdEEviiiiPKT0_S3_S3_S3_PS1_S4_S4_S4_,"axG",@progbits,_ZN9rocsparseL44gtsv_nopivot_strided_batch_pcr_stage1_kernelILj256EdEEviiiiPKT0_S3_S3_S3_PS1_S4_S4_S4_,comdat
	.globl	_ZN9rocsparseL44gtsv_nopivot_strided_batch_pcr_stage1_kernelILj256EdEEviiiiPKT0_S3_S3_S3_PS1_S4_S4_S4_ ; -- Begin function _ZN9rocsparseL44gtsv_nopivot_strided_batch_pcr_stage1_kernelILj256EdEEviiiiPKT0_S3_S3_S3_PS1_S4_S4_S4_
	.p2align	8
	.type	_ZN9rocsparseL44gtsv_nopivot_strided_batch_pcr_stage1_kernelILj256EdEEviiiiPKT0_S3_S3_S3_PS1_S4_S4_S4_,@function
_ZN9rocsparseL44gtsv_nopivot_strided_batch_pcr_stage1_kernelILj256EdEEviiiiPKT0_S3_S3_S3_PS1_S4_S4_S4_: ; @_ZN9rocsparseL44gtsv_nopivot_strided_batch_pcr_stage1_kernelILj256EdEEviiiiPKT0_S3_S3_S3_PS1_S4_S4_S4_
; %bb.0:
	s_load_dwordx2 s[12:13], s[0:1], 0x0
	v_lshl_or_b32 v0, s2, 8, v0
	s_waitcnt lgkmcnt(0)
	v_cmp_gt_i32_e32 vcc, s13, v0
	s_and_saveexec_b64 s[4:5], vcc
	s_cbranch_execz .LBB40_2
; %bb.1:
	s_load_dword s14, s[0:1], 0xc
	s_load_dwordx8 s[4:11], s[0:1], 0x30
	s_load_dwordx8 s[16:23], s[0:1], 0x10
	s_mul_i32 s2, s13, s3
	v_subrev_u32_e32 v1, s12, v0
	s_waitcnt lgkmcnt(0)
	s_mul_i32 s0, s14, s3
	s_ashr_i32 s1, s0, 31
	s_lshl_b64 s[14:15], s[0:1], 3
	s_add_u32 s0, s16, s14
	s_addc_u32 s1, s17, s15
	s_ashr_i32 s3, s2, 31
	s_lshl_b64 s[16:17], s[2:3], 3
	s_add_u32 s2, s4, s16
	s_addc_u32 s3, s5, s17
	s_add_u32 s18, s18, s14
	s_addc_u32 s19, s19, s15
	v_max_i32_e32 v2, 0, v1
	v_ashrrev_i32_e32 v1, 31, v0
	v_mov_b32_e32 v3, 0
	s_add_u32 s4, s6, s16
	v_lshlrev_b64 v[4:5], 3, v[0:1]
	v_lshlrev_b64 v[2:3], 3, v[2:3]
	s_addc_u32 s5, s7, s17
	v_lshl_add_u64 v[6:7], s[0:1], 0, v[4:5]
	v_lshl_add_u64 v[8:9], s[18:19], 0, v[2:3]
	s_add_u32 s20, s20, s14
	global_load_dwordx2 v[6:7], v[6:7], off
	s_addc_u32 s21, s21, s15
	global_load_dwordx2 v[8:9], v[8:9], off
	s_add_u32 s6, s8, s16
	s_addc_u32 s7, s9, s17
	s_add_u32 s8, s22, s14
	s_addc_u32 s9, s23, s15
	;; [unrolled: 2-line block ×3, first 2 shown]
	v_add_u32_e32 v0, s12, v0
	s_add_i32 s12, s13, -1
	v_min_i32_e32 v0, s12, v0
	v_ashrrev_i32_e32 v1, 31, v0
	v_lshlrev_b64 v[0:1], 3, v[0:1]
	v_lshl_add_u64 v[10:11], s[20:21], 0, v[4:5]
	v_lshl_add_u64 v[12:13], s[18:19], 0, v[0:1]
	global_load_dwordx2 v[10:11], v[10:11], off
	v_lshl_add_u64 v[16:17], s[18:19], 0, v[4:5]
	global_load_dwordx2 v[12:13], v[12:13], off
	;; [unrolled: 2-line block ×10, first 2 shown]
	v_lshl_add_u64 v[28:29], s[4:5], 0, v[4:5]
	v_lshl_add_u64 v[30:31], s[6:7], 0, v[4:5]
	;; [unrolled: 1-line block ×3, first 2 shown]
	s_waitcnt vmcnt(10)
	v_div_scale_f64 v[32:33], s[0:1], v[8:9], v[8:9], v[6:7]
	v_rcp_f64_e32 v[34:35], v[32:33]
	v_div_scale_f64 v[36:37], vcc, v[6:7], v[8:9], v[6:7]
	v_fma_f64 v[38:39], -v[32:33], v[34:35], 1.0
	v_fmac_f64_e32 v[34:35], v[34:35], v[38:39]
	v_fma_f64 v[38:39], -v[32:33], v[34:35], 1.0
	v_fmac_f64_e32 v[34:35], v[34:35], v[38:39]
	v_mul_f64 v[38:39], v[36:37], v[34:35]
	v_fma_f64 v[32:33], -v[32:33], v[38:39], v[36:37]
	v_div_fmas_f64 v[32:33], v[32:33], v[34:35], v[38:39]
	v_div_fixup_f64 v[6:7], v[32:33], v[8:9], v[6:7]
	s_waitcnt vmcnt(8)
	v_div_scale_f64 v[8:9], s[0:1], v[12:13], v[12:13], v[10:11]
	v_div_scale_f64 v[32:33], vcc, v[10:11], v[12:13], v[10:11]
	s_waitcnt vmcnt(6)
	v_fma_f64 v[16:17], -v[6:7], v[18:19], v[16:17]
	v_rcp_f64_e32 v[18:19], v[8:9]
	s_waitcnt vmcnt(5)
	v_mul_f64 v[2:3], v[6:7], -v[2:3]
	global_store_dwordx2 v[26:27], v[2:3], off
	v_fma_f64 v[2:3], -v[8:9], v[18:19], 1.0
	v_fmac_f64_e32 v[18:19], v[18:19], v[2:3]
	v_fma_f64 v[2:3], -v[8:9], v[18:19], 1.0
	v_fmac_f64_e32 v[18:19], v[18:19], v[2:3]
	v_mul_f64 v[2:3], v[32:33], v[18:19]
	s_waitcnt vmcnt(4)
	v_fma_f64 v[14:15], -v[6:7], v[14:15], v[20:21]
	v_fma_f64 v[6:7], -v[8:9], v[2:3], v[32:33]
	v_div_fmas_f64 v[2:3], v[6:7], v[18:19], v[2:3]
	v_div_fixup_f64 v[2:3], v[2:3], v[12:13], v[10:11]
	s_waitcnt vmcnt(3)
	v_fma_f64 v[6:7], -v[2:3], v[24:25], v[16:17]
	s_waitcnt vmcnt(2)
	v_fma_f64 v[8:9], -v[22:23], v[2:3], v[14:15]
	s_waitcnt vmcnt(1)
	v_mul_f64 v[0:1], v[2:3], -v[0:1]
	global_store_dwordx2 v[28:29], v[6:7], off
	global_store_dwordx2 v[4:5], v[8:9], off
	;; [unrolled: 1-line block ×3, first 2 shown]
.LBB40_2:
	s_endpgm
	.section	.rodata,"a",@progbits
	.p2align	6, 0x0
	.amdhsa_kernel _ZN9rocsparseL44gtsv_nopivot_strided_batch_pcr_stage1_kernelILj256EdEEviiiiPKT0_S3_S3_S3_PS1_S4_S4_S4_
		.amdhsa_group_segment_fixed_size 0
		.amdhsa_private_segment_fixed_size 0
		.amdhsa_kernarg_size 80
		.amdhsa_user_sgpr_count 2
		.amdhsa_user_sgpr_dispatch_ptr 0
		.amdhsa_user_sgpr_queue_ptr 0
		.amdhsa_user_sgpr_kernarg_segment_ptr 1
		.amdhsa_user_sgpr_dispatch_id 0
		.amdhsa_user_sgpr_kernarg_preload_length 0
		.amdhsa_user_sgpr_kernarg_preload_offset 0
		.amdhsa_user_sgpr_private_segment_size 0
		.amdhsa_uses_dynamic_stack 0
		.amdhsa_enable_private_segment 0
		.amdhsa_system_sgpr_workgroup_id_x 1
		.amdhsa_system_sgpr_workgroup_id_y 1
		.amdhsa_system_sgpr_workgroup_id_z 0
		.amdhsa_system_sgpr_workgroup_info 0
		.amdhsa_system_vgpr_workitem_id 0
		.amdhsa_next_free_vgpr 40
		.amdhsa_next_free_sgpr 24
		.amdhsa_accum_offset 40
		.amdhsa_reserve_vcc 1
		.amdhsa_float_round_mode_32 0
		.amdhsa_float_round_mode_16_64 0
		.amdhsa_float_denorm_mode_32 3
		.amdhsa_float_denorm_mode_16_64 3
		.amdhsa_dx10_clamp 1
		.amdhsa_ieee_mode 1
		.amdhsa_fp16_overflow 0
		.amdhsa_tg_split 0
		.amdhsa_exception_fp_ieee_invalid_op 0
		.amdhsa_exception_fp_denorm_src 0
		.amdhsa_exception_fp_ieee_div_zero 0
		.amdhsa_exception_fp_ieee_overflow 0
		.amdhsa_exception_fp_ieee_underflow 0
		.amdhsa_exception_fp_ieee_inexact 0
		.amdhsa_exception_int_div_zero 0
	.end_amdhsa_kernel
	.section	.text._ZN9rocsparseL44gtsv_nopivot_strided_batch_pcr_stage1_kernelILj256EdEEviiiiPKT0_S3_S3_S3_PS1_S4_S4_S4_,"axG",@progbits,_ZN9rocsparseL44gtsv_nopivot_strided_batch_pcr_stage1_kernelILj256EdEEviiiiPKT0_S3_S3_S3_PS1_S4_S4_S4_,comdat
.Lfunc_end40:
	.size	_ZN9rocsparseL44gtsv_nopivot_strided_batch_pcr_stage1_kernelILj256EdEEviiiiPKT0_S3_S3_S3_PS1_S4_S4_S4_, .Lfunc_end40-_ZN9rocsparseL44gtsv_nopivot_strided_batch_pcr_stage1_kernelILj256EdEEviiiiPKT0_S3_S3_S3_PS1_S4_S4_S4_
                                        ; -- End function
	.set _ZN9rocsparseL44gtsv_nopivot_strided_batch_pcr_stage1_kernelILj256EdEEviiiiPKT0_S3_S3_S3_PS1_S4_S4_S4_.num_vgpr, 40
	.set _ZN9rocsparseL44gtsv_nopivot_strided_batch_pcr_stage1_kernelILj256EdEEviiiiPKT0_S3_S3_S3_PS1_S4_S4_S4_.num_agpr, 0
	.set _ZN9rocsparseL44gtsv_nopivot_strided_batch_pcr_stage1_kernelILj256EdEEviiiiPKT0_S3_S3_S3_PS1_S4_S4_S4_.numbered_sgpr, 24
	.set _ZN9rocsparseL44gtsv_nopivot_strided_batch_pcr_stage1_kernelILj256EdEEviiiiPKT0_S3_S3_S3_PS1_S4_S4_S4_.num_named_barrier, 0
	.set _ZN9rocsparseL44gtsv_nopivot_strided_batch_pcr_stage1_kernelILj256EdEEviiiiPKT0_S3_S3_S3_PS1_S4_S4_S4_.private_seg_size, 0
	.set _ZN9rocsparseL44gtsv_nopivot_strided_batch_pcr_stage1_kernelILj256EdEEviiiiPKT0_S3_S3_S3_PS1_S4_S4_S4_.uses_vcc, 1
	.set _ZN9rocsparseL44gtsv_nopivot_strided_batch_pcr_stage1_kernelILj256EdEEviiiiPKT0_S3_S3_S3_PS1_S4_S4_S4_.uses_flat_scratch, 0
	.set _ZN9rocsparseL44gtsv_nopivot_strided_batch_pcr_stage1_kernelILj256EdEEviiiiPKT0_S3_S3_S3_PS1_S4_S4_S4_.has_dyn_sized_stack, 0
	.set _ZN9rocsparseL44gtsv_nopivot_strided_batch_pcr_stage1_kernelILj256EdEEviiiiPKT0_S3_S3_S3_PS1_S4_S4_S4_.has_recursion, 0
	.set _ZN9rocsparseL44gtsv_nopivot_strided_batch_pcr_stage1_kernelILj256EdEEviiiiPKT0_S3_S3_S3_PS1_S4_S4_S4_.has_indirect_call, 0
	.section	.AMDGPU.csdata,"",@progbits
; Kernel info:
; codeLenInByte = 696
; TotalNumSgprs: 30
; NumVgprs: 40
; NumAgprs: 0
; TotalNumVgprs: 40
; ScratchSize: 0
; MemoryBound: 0
; FloatMode: 240
; IeeeMode: 1
; LDSByteSize: 0 bytes/workgroup (compile time only)
; SGPRBlocks: 3
; VGPRBlocks: 4
; NumSGPRsForWavesPerEU: 30
; NumVGPRsForWavesPerEU: 40
; AccumOffset: 40
; Occupancy: 8
; WaveLimiterHint : 0
; COMPUTE_PGM_RSRC2:SCRATCH_EN: 0
; COMPUTE_PGM_RSRC2:USER_SGPR: 2
; COMPUTE_PGM_RSRC2:TRAP_HANDLER: 0
; COMPUTE_PGM_RSRC2:TGID_X_EN: 1
; COMPUTE_PGM_RSRC2:TGID_Y_EN: 1
; COMPUTE_PGM_RSRC2:TGID_Z_EN: 0
; COMPUTE_PGM_RSRC2:TIDIG_COMP_CNT: 0
; COMPUTE_PGM_RSRC3_GFX90A:ACCUM_OFFSET: 9
; COMPUTE_PGM_RSRC3_GFX90A:TG_SPLIT: 0
	.section	.text._ZN9rocsparseL44gtsv_nopivot_strided_batch_pcr_stage2_kernelILj512EdEEviiiPKT0_S3_S3_S3_PS1_,"axG",@progbits,_ZN9rocsparseL44gtsv_nopivot_strided_batch_pcr_stage2_kernelILj512EdEEviiiPKT0_S3_S3_S3_PS1_,comdat
	.globl	_ZN9rocsparseL44gtsv_nopivot_strided_batch_pcr_stage2_kernelILj512EdEEviiiPKT0_S3_S3_S3_PS1_ ; -- Begin function _ZN9rocsparseL44gtsv_nopivot_strided_batch_pcr_stage2_kernelILj512EdEEviiiPKT0_S3_S3_S3_PS1_
	.p2align	8
	.type	_ZN9rocsparseL44gtsv_nopivot_strided_batch_pcr_stage2_kernelILj512EdEEviiiPKT0_S3_S3_S3_PS1_,@function
_ZN9rocsparseL44gtsv_nopivot_strided_batch_pcr_stage2_kernelILj512EdEEviiiPKT0_S3_S3_S3_PS1_: ; @_ZN9rocsparseL44gtsv_nopivot_strided_batch_pcr_stage2_kernelILj512EdEEviiiPKT0_S3_S3_S3_PS1_
; %bb.0:
	s_load_dword s4, s[0:1], 0x38
	s_load_dword s5, s[0:1], 0x0
	s_load_dwordx8 s[8:15], s[0:1], 0x10
	v_sub_u32_e64 v12, v0, 1 clamp
	v_min_u32_e32 v13, 0x1fd, v0
	s_waitcnt lgkmcnt(0)
	v_mul_lo_u32 v1, s4, v0
	v_add_u32_e32 v1, s2, v1
	s_mul_i32 s6, s5, s3
	s_add_i32 s2, s5, s2
	s_add_i32 s2, s2, s6
	s_sub_i32 s2, s2, s4
	v_add_u32_e32 v2, s6, v1
	v_mov_b32_e32 v3, s2
	v_cmp_gt_i32_e64 s[4:5], s5, v1
	v_sub_u32_e64 v14, v0, 2 clamp
	v_lshlrev_b32_e32 v20, 3, v12
	v_cndmask_b32_e64 v2, v3, v2, s[4:5]
	v_mov_b32_e32 v3, 0
	v_lshlrev_b64 v[2:3], 3, v[2:3]
	v_lshl_add_u64 v[4:5], s[8:9], 0, v[2:3]
	v_lshl_add_u64 v[6:7], s[10:11], 0, v[2:3]
	global_load_dwordx2 v[4:5], v[4:5], off
	v_lshl_add_u64 v[8:9], s[12:13], 0, v[2:3]
	global_load_dwordx2 v[6:7], v[6:7], off
	;; [unrolled: 2-line block ×3, first 2 shown]
	v_lshlrev_b32_e32 v12, 3, v13
	global_load_dwordx2 v[10:11], v[2:3], off
	v_min_u32_e32 v3, 0x1fe, v0
	v_lshlrev_b32_e32 v2, 3, v0
	v_lshlrev_b32_e32 v3, 3, v3
	;; [unrolled: 1-line block ×3, first 2 shown]
	v_add_u32_e32 v3, 8, v3
	v_add_u32_e32 v45, 16, v12
	s_movk_i32 s2, 0x80
	s_waitcnt vmcnt(2)
	ds_write2st64_b64 v2, v[4:5], v[6:7] offset1:8
	s_waitcnt vmcnt(0)
	ds_write2st64_b64 v2, v[8:9], v[10:11] offset0:16 offset1:32
	s_waitcnt lgkmcnt(0)
	s_barrier
	ds_read2st64_b64 v[4:7], v2 offset1:8
	ds_read2st64_b64 v[8:11], v20 offset1:8
	ds_read2st64_b64 v[12:15], v2 offset0:16 offset1:32
	ds_read2st64_b64 v[16:19], v3 offset1:8
	ds_read2st64_b64 v[20:23], v20 offset0:16 offset1:32
	ds_read2st64_b64 v[24:27], v3 offset0:16 offset1:32
	s_waitcnt lgkmcnt(4)
	v_div_scale_f64 v[28:29], s[6:7], v[10:11], v[10:11], v[4:5]
	s_waitcnt lgkmcnt(2)
	v_div_scale_f64 v[32:33], s[6:7], v[18:19], v[18:19], v[12:13]
	v_rcp_f64_e32 v[34:35], v[28:29]
	v_rcp_f64_e32 v[36:37], v[32:33]
	v_div_scale_f64 v[30:31], vcc, v[4:5], v[10:11], v[4:5]
	v_fma_f64 v[40:41], -v[28:29], v[34:35], 1.0
	v_fma_f64 v[42:43], -v[32:33], v[36:37], 1.0
	v_fmac_f64_e32 v[34:35], v[34:35], v[40:41]
	v_fmac_f64_e32 v[36:37], v[36:37], v[42:43]
	v_fma_f64 v[40:41], -v[28:29], v[34:35], 1.0
	v_fma_f64 v[42:43], -v[32:33], v[36:37], 1.0
	v_fmac_f64_e32 v[34:35], v[34:35], v[40:41]
	v_div_scale_f64 v[38:39], s[6:7], v[12:13], v[18:19], v[12:13]
	v_fmac_f64_e32 v[36:37], v[36:37], v[42:43]
	v_mul_f64 v[40:41], v[30:31], v[34:35]
	v_mul_f64 v[42:43], v[38:39], v[36:37]
	v_fma_f64 v[28:29], -v[28:29], v[40:41], v[30:31]
	v_fma_f64 v[30:31], -v[32:33], v[42:43], v[38:39]
	v_div_fmas_f64 v[28:29], v[28:29], v[34:35], v[40:41]
	s_mov_b64 vcc, s[6:7]
	v_div_fixup_f64 v[4:5], v[28:29], v[10:11], v[4:5]
	v_div_fmas_f64 v[10:11], v[30:31], v[36:37], v[42:43]
	v_div_fixup_f64 v[10:11], v[10:11], v[18:19], v[12:13]
	s_waitcnt lgkmcnt(1)
	v_fma_f64 v[6:7], -v[4:5], v[20:21], v[6:7]
	v_fma_f64 v[12:13], -v[4:5], v[22:23], v[14:15]
	v_mul_f64 v[4:5], v[4:5], -v[8:9]
	v_fma_f64 v[6:7], -v[10:11], v[16:17], v[6:7]
	s_waitcnt lgkmcnt(0)
	v_fma_f64 v[8:9], -v[10:11], v[26:27], v[12:13]
	v_mul_f64 v[10:11], v[10:11], -v[24:25]
	s_barrier
	ds_write2st64_b64 v2, v[4:5], v[6:7] offset1:8
	ds_write2st64_b64 v2, v[10:11], v[8:9] offset0:16 offset1:32
	s_waitcnt lgkmcnt(0)
	s_barrier
	ds_read2st64_b64 v[4:7], v2 offset1:8
	ds_read2st64_b64 v[8:11], v44 offset1:8
	ds_read2st64_b64 v[12:15], v2 offset0:16 offset1:32
	ds_read2st64_b64 v[16:19], v45 offset1:8
	ds_read2st64_b64 v[20:23], v44 offset0:16 offset1:32
	ds_read2st64_b64 v[24:27], v45 offset0:16 offset1:32
	s_waitcnt lgkmcnt(4)
	v_div_scale_f64 v[28:29], s[6:7], v[10:11], v[10:11], v[4:5]
	s_waitcnt lgkmcnt(2)
	v_div_scale_f64 v[32:33], s[6:7], v[18:19], v[18:19], v[12:13]
	v_rcp_f64_e32 v[34:35], v[28:29]
	v_rcp_f64_e32 v[36:37], v[32:33]
	v_div_scale_f64 v[30:31], vcc, v[4:5], v[10:11], v[4:5]
	v_fma_f64 v[40:41], -v[28:29], v[34:35], 1.0
	v_fma_f64 v[42:43], -v[32:33], v[36:37], 1.0
	v_fmac_f64_e32 v[34:35], v[34:35], v[40:41]
	v_fmac_f64_e32 v[36:37], v[36:37], v[42:43]
	v_fma_f64 v[40:41], -v[28:29], v[34:35], 1.0
	v_fma_f64 v[42:43], -v[32:33], v[36:37], 1.0
	v_fmac_f64_e32 v[34:35], v[34:35], v[40:41]
	v_div_scale_f64 v[38:39], s[6:7], v[12:13], v[18:19], v[12:13]
	v_fmac_f64_e32 v[36:37], v[36:37], v[42:43]
	v_mul_f64 v[40:41], v[30:31], v[34:35]
	v_mul_f64 v[42:43], v[38:39], v[36:37]
	v_fma_f64 v[28:29], -v[28:29], v[40:41], v[30:31]
	v_fma_f64 v[30:31], -v[32:33], v[42:43], v[38:39]
	v_div_fmas_f64 v[28:29], v[28:29], v[34:35], v[40:41]
	s_mov_b64 vcc, s[6:7]
	v_div_fixup_f64 v[4:5], v[28:29], v[10:11], v[4:5]
	v_div_fmas_f64 v[10:11], v[30:31], v[36:37], v[42:43]
	v_div_fixup_f64 v[10:11], v[10:11], v[18:19], v[12:13]
	s_waitcnt lgkmcnt(1)
	v_fma_f64 v[6:7], -v[4:5], v[20:21], v[6:7]
	v_fma_f64 v[12:13], -v[4:5], v[22:23], v[14:15]
	v_sub_u32_e64 v3, v0, 4 clamp
	v_mul_f64 v[4:5], v[4:5], -v[8:9]
	v_fma_f64 v[6:7], -v[10:11], v[16:17], v[6:7]
	s_waitcnt lgkmcnt(0)
	v_fma_f64 v[8:9], -v[10:11], v[26:27], v[12:13]
	v_mul_f64 v[10:11], v[10:11], -v[24:25]
	v_lshlrev_b32_e32 v3, 3, v3
	s_barrier
	ds_write2st64_b64 v2, v[4:5], v[6:7] offset1:8
	ds_write2st64_b64 v2, v[10:11], v[8:9] offset0:16 offset1:32
	s_waitcnt lgkmcnt(0)
	s_barrier
	ds_read2st64_b64 v[4:7], v2 offset1:8
	ds_read2st64_b64 v[8:11], v3 offset1:8
	v_min_u32_e32 v16, 0x1fb, v0
	v_lshlrev_b32_e32 v16, 3, v16
	v_add_u32_e32 v30, 32, v16
	ds_read2st64_b64 v[16:19], v30 offset1:8
	s_waitcnt lgkmcnt(1)
	v_div_scale_f64 v[20:21], s[6:7], v[10:11], v[10:11], v[4:5]
	v_rcp_f64_e32 v[22:23], v[20:21]
	v_div_scale_f64 v[24:25], vcc, v[4:5], v[10:11], v[4:5]
	v_fma_f64 v[12:13], -v[20:21], v[22:23], 1.0
	v_fmac_f64_e32 v[22:23], v[22:23], v[12:13]
	v_fma_f64 v[12:13], -v[20:21], v[22:23], 1.0
	v_fmac_f64_e32 v[22:23], v[22:23], v[12:13]
	ds_read2st64_b64 v[12:15], v2 offset0:16 offset1:32
	v_mul_f64 v[26:27], v[24:25], v[22:23]
	v_fma_f64 v[20:21], -v[20:21], v[26:27], v[24:25]
	v_div_fmas_f64 v[20:21], v[20:21], v[22:23], v[26:27]
	v_div_fixup_f64 v[4:5], v[20:21], v[10:11], v[4:5]
	s_waitcnt lgkmcnt(0)
	v_div_scale_f64 v[24:25], s[6:7], v[18:19], v[18:19], v[12:13]
	v_rcp_f64_e32 v[28:29], v[24:25]
	ds_read2st64_b64 v[20:23], v3 offset0:16 offset1:32
	v_sub_u32_e64 v3, v0, 8 clamp
	v_lshlrev_b32_e32 v3, 3, v3
	v_fma_f64 v[10:11], -v[24:25], v[28:29], 1.0
	v_fmac_f64_e32 v[28:29], v[28:29], v[10:11]
	v_fma_f64 v[10:11], -v[24:25], v[28:29], 1.0
	v_fmac_f64_e32 v[28:29], v[28:29], v[10:11]
	v_div_scale_f64 v[10:11], vcc, v[12:13], v[18:19], v[12:13]
	v_mul_f64 v[26:27], v[10:11], v[28:29]
	v_fma_f64 v[10:11], -v[24:25], v[26:27], v[10:11]
	s_waitcnt lgkmcnt(0)
	v_fma_f64 v[6:7], -v[4:5], v[20:21], v[6:7]
	v_div_fmas_f64 v[10:11], v[10:11], v[28:29], v[26:27]
	ds_read2st64_b64 v[24:27], v30 offset0:16 offset1:32
	v_div_fixup_f64 v[10:11], v[10:11], v[18:19], v[12:13]
	v_fma_f64 v[6:7], -v[10:11], v[16:17], v[6:7]
	v_fma_f64 v[12:13], -v[4:5], v[22:23], v[14:15]
	v_mul_f64 v[4:5], v[4:5], -v[8:9]
	s_waitcnt lgkmcnt(0)
	v_mul_f64 v[8:9], v[10:11], -v[24:25]
	v_fma_f64 v[12:13], -v[10:11], v[26:27], v[12:13]
	s_barrier
	ds_write2st64_b64 v2, v[4:5], v[6:7] offset1:8
	ds_write2st64_b64 v2, v[8:9], v[12:13] offset0:16 offset1:32
	s_waitcnt lgkmcnt(0)
	s_barrier
	ds_read2st64_b64 v[4:7], v2 offset1:8
	ds_read2st64_b64 v[8:11], v3 offset1:8
	v_min_u32_e32 v16, 0x1f7, v0
	v_lshlrev_b32_e32 v16, 3, v16
	v_add_u32_e32 v30, 64, v16
	ds_read2st64_b64 v[16:19], v30 offset1:8
	s_waitcnt lgkmcnt(1)
	v_div_scale_f64 v[20:21], s[6:7], v[10:11], v[10:11], v[4:5]
	v_rcp_f64_e32 v[22:23], v[20:21]
	v_div_scale_f64 v[24:25], vcc, v[4:5], v[10:11], v[4:5]
	v_fma_f64 v[12:13], -v[20:21], v[22:23], 1.0
	v_fmac_f64_e32 v[22:23], v[22:23], v[12:13]
	v_fma_f64 v[12:13], -v[20:21], v[22:23], 1.0
	v_fmac_f64_e32 v[22:23], v[22:23], v[12:13]
	ds_read2st64_b64 v[12:15], v2 offset0:16 offset1:32
	v_mul_f64 v[26:27], v[24:25], v[22:23]
	v_fma_f64 v[20:21], -v[20:21], v[26:27], v[24:25]
	v_div_fmas_f64 v[20:21], v[20:21], v[22:23], v[26:27]
	v_div_fixup_f64 v[4:5], v[20:21], v[10:11], v[4:5]
	s_waitcnt lgkmcnt(0)
	v_div_scale_f64 v[24:25], s[6:7], v[18:19], v[18:19], v[12:13]
	v_rcp_f64_e32 v[28:29], v[24:25]
	ds_read2st64_b64 v[20:23], v3 offset0:16 offset1:32
	v_sub_u32_e64 v3, v0, 16 clamp
	v_lshlrev_b32_e32 v3, 3, v3
	v_fma_f64 v[10:11], -v[24:25], v[28:29], 1.0
	v_fmac_f64_e32 v[28:29], v[28:29], v[10:11]
	v_fma_f64 v[10:11], -v[24:25], v[28:29], 1.0
	v_fmac_f64_e32 v[28:29], v[28:29], v[10:11]
	v_div_scale_f64 v[10:11], vcc, v[12:13], v[18:19], v[12:13]
	v_mul_f64 v[26:27], v[10:11], v[28:29]
	v_fma_f64 v[10:11], -v[24:25], v[26:27], v[10:11]
	s_waitcnt lgkmcnt(0)
	v_fma_f64 v[6:7], -v[4:5], v[20:21], v[6:7]
	v_div_fmas_f64 v[10:11], v[10:11], v[28:29], v[26:27]
	ds_read2st64_b64 v[24:27], v30 offset0:16 offset1:32
	v_div_fixup_f64 v[10:11], v[10:11], v[18:19], v[12:13]
	v_fma_f64 v[6:7], -v[10:11], v[16:17], v[6:7]
	v_fma_f64 v[12:13], -v[4:5], v[22:23], v[14:15]
	v_mul_f64 v[4:5], v[4:5], -v[8:9]
	s_waitcnt lgkmcnt(0)
	v_mul_f64 v[8:9], v[10:11], -v[24:25]
	v_fma_f64 v[12:13], -v[10:11], v[26:27], v[12:13]
	;; [unrolled: 48-line block ×4, first 2 shown]
	s_barrier
	ds_write2st64_b64 v2, v[4:5], v[6:7] offset1:8
	ds_write2st64_b64 v2, v[8:9], v[12:13] offset0:16 offset1:32
	s_waitcnt lgkmcnt(0)
	s_barrier
	ds_read2st64_b64 v[4:7], v2 offset1:8
	ds_read2st64_b64 v[8:11], v3 offset1:8
	v_min_u32_e32 v16, 0x1bf, v0
	v_lshlrev_b32_e32 v30, 3, v16
	ds_read2st64_b64 v[16:19], v30 offset0:1 offset1:9
	s_waitcnt lgkmcnt(1)
	v_div_scale_f64 v[20:21], s[6:7], v[10:11], v[10:11], v[4:5]
	v_rcp_f64_e32 v[22:23], v[20:21]
	v_div_scale_f64 v[24:25], vcc, v[4:5], v[10:11], v[4:5]
	v_fma_f64 v[12:13], -v[20:21], v[22:23], 1.0
	v_fmac_f64_e32 v[22:23], v[22:23], v[12:13]
	v_fma_f64 v[12:13], -v[20:21], v[22:23], 1.0
	v_fmac_f64_e32 v[22:23], v[22:23], v[12:13]
	ds_read2st64_b64 v[12:15], v2 offset0:16 offset1:32
	v_mul_f64 v[26:27], v[24:25], v[22:23]
	v_fma_f64 v[20:21], -v[20:21], v[26:27], v[24:25]
	v_div_fmas_f64 v[20:21], v[20:21], v[22:23], v[26:27]
	v_div_fixup_f64 v[4:5], v[20:21], v[10:11], v[4:5]
	s_waitcnt lgkmcnt(0)
	v_div_scale_f64 v[24:25], s[6:7], v[18:19], v[18:19], v[12:13]
	v_rcp_f64_e32 v[28:29], v[24:25]
	ds_read2st64_b64 v[20:23], v3 offset0:16 offset1:32
	v_sub_u32_e64 v3, v0, s2 clamp
	v_lshlrev_b32_e32 v3, 3, v3
	v_fma_f64 v[10:11], -v[24:25], v[28:29], 1.0
	v_fmac_f64_e32 v[28:29], v[28:29], v[10:11]
	v_fma_f64 v[10:11], -v[24:25], v[28:29], 1.0
	v_fmac_f64_e32 v[28:29], v[28:29], v[10:11]
	v_div_scale_f64 v[10:11], vcc, v[12:13], v[18:19], v[12:13]
	v_mul_f64 v[26:27], v[10:11], v[28:29]
	v_fma_f64 v[10:11], -v[24:25], v[26:27], v[10:11]
	s_waitcnt lgkmcnt(0)
	v_fma_f64 v[6:7], -v[4:5], v[20:21], v[6:7]
	v_div_fmas_f64 v[10:11], v[10:11], v[28:29], v[26:27]
	ds_read2st64_b64 v[24:27], v30 offset0:17 offset1:33
	v_div_fixup_f64 v[10:11], v[10:11], v[18:19], v[12:13]
	v_fma_f64 v[6:7], -v[10:11], v[16:17], v[6:7]
	v_fma_f64 v[12:13], -v[4:5], v[22:23], v[14:15]
	v_mul_f64 v[4:5], v[4:5], -v[8:9]
	s_waitcnt lgkmcnt(0)
	v_mul_f64 v[8:9], v[10:11], -v[24:25]
	v_fma_f64 v[12:13], -v[10:11], v[26:27], v[12:13]
	s_barrier
	ds_write2st64_b64 v2, v[4:5], v[6:7] offset1:8
	ds_write2st64_b64 v2, v[8:9], v[12:13] offset0:16 offset1:32
	s_waitcnt lgkmcnt(0)
	s_barrier
	ds_read2st64_b64 v[4:7], v2 offset1:8
	ds_read2st64_b64 v[8:11], v3 offset1:8
	v_min_u32_e32 v16, 0x17f, v0
	v_lshlrev_b32_e32 v30, 3, v16
	ds_read2st64_b64 v[16:19], v30 offset0:2 offset1:10
	s_movk_i32 s2, 0x100
	s_waitcnt lgkmcnt(1)
	v_div_scale_f64 v[20:21], s[6:7], v[10:11], v[10:11], v[4:5]
	v_rcp_f64_e32 v[22:23], v[20:21]
	v_div_scale_f64 v[24:25], vcc, v[4:5], v[10:11], v[4:5]
	v_fma_f64 v[12:13], -v[20:21], v[22:23], 1.0
	v_fmac_f64_e32 v[22:23], v[22:23], v[12:13]
	v_fma_f64 v[12:13], -v[20:21], v[22:23], 1.0
	v_fmac_f64_e32 v[22:23], v[22:23], v[12:13]
	ds_read2st64_b64 v[12:15], v2 offset0:16 offset1:32
	v_mul_f64 v[26:27], v[24:25], v[22:23]
	v_fma_f64 v[20:21], -v[20:21], v[26:27], v[24:25]
	v_div_fmas_f64 v[20:21], v[20:21], v[22:23], v[26:27]
	v_div_fixup_f64 v[4:5], v[20:21], v[10:11], v[4:5]
	s_waitcnt lgkmcnt(0)
	v_div_scale_f64 v[24:25], s[6:7], v[18:19], v[18:19], v[12:13]
	v_rcp_f64_e32 v[28:29], v[24:25]
	ds_read2st64_b64 v[20:23], v3 offset0:16 offset1:32
	v_fma_f64 v[10:11], -v[24:25], v[28:29], 1.0
	v_fmac_f64_e32 v[28:29], v[28:29], v[10:11]
	v_fma_f64 v[10:11], -v[24:25], v[28:29], 1.0
	v_fmac_f64_e32 v[28:29], v[28:29], v[10:11]
	v_div_scale_f64 v[10:11], vcc, v[12:13], v[18:19], v[12:13]
	v_mul_f64 v[26:27], v[10:11], v[28:29]
	v_fma_f64 v[10:11], -v[24:25], v[26:27], v[10:11]
	s_waitcnt lgkmcnt(0)
	v_fma_f64 v[6:7], -v[4:5], v[20:21], v[6:7]
	v_div_fmas_f64 v[10:11], v[10:11], v[28:29], v[26:27]
	ds_read2st64_b64 v[24:27], v30 offset0:18 offset1:34
	v_div_fixup_f64 v[10:11], v[10:11], v[18:19], v[12:13]
	v_fma_f64 v[6:7], -v[10:11], v[16:17], v[6:7]
	v_fma_f64 v[12:13], -v[4:5], v[22:23], v[14:15]
	v_mul_f64 v[4:5], v[4:5], -v[8:9]
	v_cmp_gt_u32_e32 vcc, s2, v0
	s_waitcnt lgkmcnt(0)
	v_fma_f64 v[12:13], -v[10:11], v[26:27], v[12:13]
	v_mul_f64 v[8:9], v[10:11], -v[24:25]
	s_barrier
	ds_write2st64_b64 v2, v[4:5], v[6:7] offset1:8
	ds_write2st64_b64 v2, v[8:9], v[12:13] offset0:16 offset1:32
	s_waitcnt lgkmcnt(0)
	s_barrier
	s_and_saveexec_b64 s[6:7], vcc
	s_cbranch_execz .LBB41_2
; %bb.1:
	v_or_b32_e32 v3, 0x2000, v2
	v_or_b32_e32 v0, 0x1000, v2
	ds_read_b64 v[12:13], v3
	ds_read_b64 v[14:15], v2 offset:2048
	ds_read2st64_b64 v[4:7], v0 offset1:4
	v_or_b32_e32 v0, 0x4000, v2
	s_waitcnt lgkmcnt(1)
	v_mul_f64 v[8:9], v[12:13], v[14:15]
	s_waitcnt lgkmcnt(0)
	v_fma_f64 v[16:17], v[6:7], v[4:5], -v[8:9]
	v_div_scale_f64 v[18:19], s[8:9], v[16:17], v[16:17], 1.0
	v_rcp_f64_e32 v[20:21], v[18:19]
	v_div_scale_f64 v[22:23], vcc, 1.0, v[16:17], 1.0
	v_fma_f64 v[8:9], -v[18:19], v[20:21], 1.0
	v_fmac_f64_e32 v[20:21], v[20:21], v[8:9]
	v_fma_f64 v[8:9], -v[18:19], v[20:21], 1.0
	v_fmac_f64_e32 v[20:21], v[20:21], v[8:9]
	ds_read2st64_b64 v[8:11], v0 offset1:4
	v_mul_f64 v[24:25], v[22:23], v[20:21]
	v_fma_f64 v[18:19], -v[18:19], v[24:25], v[22:23]
	v_div_fmas_f64 v[18:19], v[18:19], v[20:21], v[24:25]
	v_div_fixup_f64 v[16:17], v[18:19], v[16:17], 1.0
	s_waitcnt lgkmcnt(0)
	v_mul_f64 v[12:13], v[12:13], v[10:11]
	v_fma_f64 v[6:7], v[6:7], v[8:9], -v[12:13]
	v_mul_f64 v[8:9], v[14:15], v[8:9]
	v_fma_f64 v[4:5], v[4:5], v[10:11], -v[8:9]
	v_mul_f64 v[6:7], v[16:17], v[6:7]
	v_mul_f64 v[4:5], v[16:17], v[4:5]
	ds_write2st64_b64 v2, v[6:7], v[4:5] offset0:24 offset1:28
.LBB41_2:
	s_or_b64 exec, exec, s[6:7]
	s_waitcnt lgkmcnt(0)
	s_barrier
	s_and_saveexec_b64 s[6:7], s[4:5]
	s_cbranch_execz .LBB41_4
; %bb.3:
	s_load_dword s2, s[0:1], 0x8
	s_load_dwordx2 s[4:5], s[0:1], 0x30
	ds_read_b64 v[2:3], v2 offset:12288
	s_waitcnt lgkmcnt(0)
	s_mul_i32 s2, s2, s3
	v_add_u32_e32 v0, s2, v1
	v_mov_b32_e32 v1, 0
	v_lshl_add_u64 v[0:1], v[0:1], 3, s[4:5]
	global_store_dwordx2 v[0:1], v[2:3], off
.LBB41_4:
	s_endpgm
	.section	.rodata,"a",@progbits
	.p2align	6, 0x0
	.amdhsa_kernel _ZN9rocsparseL44gtsv_nopivot_strided_batch_pcr_stage2_kernelILj512EdEEviiiPKT0_S3_S3_S3_PS1_
		.amdhsa_group_segment_fixed_size 20480
		.amdhsa_private_segment_fixed_size 0
		.amdhsa_kernarg_size 312
		.amdhsa_user_sgpr_count 2
		.amdhsa_user_sgpr_dispatch_ptr 0
		.amdhsa_user_sgpr_queue_ptr 0
		.amdhsa_user_sgpr_kernarg_segment_ptr 1
		.amdhsa_user_sgpr_dispatch_id 0
		.amdhsa_user_sgpr_kernarg_preload_length 0
		.amdhsa_user_sgpr_kernarg_preload_offset 0
		.amdhsa_user_sgpr_private_segment_size 0
		.amdhsa_uses_dynamic_stack 0
		.amdhsa_enable_private_segment 0
		.amdhsa_system_sgpr_workgroup_id_x 1
		.amdhsa_system_sgpr_workgroup_id_y 1
		.amdhsa_system_sgpr_workgroup_id_z 0
		.amdhsa_system_sgpr_workgroup_info 0
		.amdhsa_system_vgpr_workitem_id 0
		.amdhsa_next_free_vgpr 46
		.amdhsa_next_free_sgpr 16
		.amdhsa_accum_offset 48
		.amdhsa_reserve_vcc 1
		.amdhsa_float_round_mode_32 0
		.amdhsa_float_round_mode_16_64 0
		.amdhsa_float_denorm_mode_32 3
		.amdhsa_float_denorm_mode_16_64 3
		.amdhsa_dx10_clamp 1
		.amdhsa_ieee_mode 1
		.amdhsa_fp16_overflow 0
		.amdhsa_tg_split 0
		.amdhsa_exception_fp_ieee_invalid_op 0
		.amdhsa_exception_fp_denorm_src 0
		.amdhsa_exception_fp_ieee_div_zero 0
		.amdhsa_exception_fp_ieee_overflow 0
		.amdhsa_exception_fp_ieee_underflow 0
		.amdhsa_exception_fp_ieee_inexact 0
		.amdhsa_exception_int_div_zero 0
	.end_amdhsa_kernel
	.section	.text._ZN9rocsparseL44gtsv_nopivot_strided_batch_pcr_stage2_kernelILj512EdEEviiiPKT0_S3_S3_S3_PS1_,"axG",@progbits,_ZN9rocsparseL44gtsv_nopivot_strided_batch_pcr_stage2_kernelILj512EdEEviiiPKT0_S3_S3_S3_PS1_,comdat
.Lfunc_end41:
	.size	_ZN9rocsparseL44gtsv_nopivot_strided_batch_pcr_stage2_kernelILj512EdEEviiiPKT0_S3_S3_S3_PS1_, .Lfunc_end41-_ZN9rocsparseL44gtsv_nopivot_strided_batch_pcr_stage2_kernelILj512EdEEviiiPKT0_S3_S3_S3_PS1_
                                        ; -- End function
	.set _ZN9rocsparseL44gtsv_nopivot_strided_batch_pcr_stage2_kernelILj512EdEEviiiPKT0_S3_S3_S3_PS1_.num_vgpr, 46
	.set _ZN9rocsparseL44gtsv_nopivot_strided_batch_pcr_stage2_kernelILj512EdEEviiiPKT0_S3_S3_S3_PS1_.num_agpr, 0
	.set _ZN9rocsparseL44gtsv_nopivot_strided_batch_pcr_stage2_kernelILj512EdEEviiiPKT0_S3_S3_S3_PS1_.numbered_sgpr, 16
	.set _ZN9rocsparseL44gtsv_nopivot_strided_batch_pcr_stage2_kernelILj512EdEEviiiPKT0_S3_S3_S3_PS1_.num_named_barrier, 0
	.set _ZN9rocsparseL44gtsv_nopivot_strided_batch_pcr_stage2_kernelILj512EdEEviiiPKT0_S3_S3_S3_PS1_.private_seg_size, 0
	.set _ZN9rocsparseL44gtsv_nopivot_strided_batch_pcr_stage2_kernelILj512EdEEviiiPKT0_S3_S3_S3_PS1_.uses_vcc, 1
	.set _ZN9rocsparseL44gtsv_nopivot_strided_batch_pcr_stage2_kernelILj512EdEEviiiPKT0_S3_S3_S3_PS1_.uses_flat_scratch, 0
	.set _ZN9rocsparseL44gtsv_nopivot_strided_batch_pcr_stage2_kernelILj512EdEEviiiPKT0_S3_S3_S3_PS1_.has_dyn_sized_stack, 0
	.set _ZN9rocsparseL44gtsv_nopivot_strided_batch_pcr_stage2_kernelILj512EdEEviiiPKT0_S3_S3_S3_PS1_.has_recursion, 0
	.set _ZN9rocsparseL44gtsv_nopivot_strided_batch_pcr_stage2_kernelILj512EdEEviiiPKT0_S3_S3_S3_PS1_.has_indirect_call, 0
	.section	.AMDGPU.csdata,"",@progbits
; Kernel info:
; codeLenInByte = 3076
; TotalNumSgprs: 22
; NumVgprs: 46
; NumAgprs: 0
; TotalNumVgprs: 46
; ScratchSize: 0
; MemoryBound: 1
; FloatMode: 240
; IeeeMode: 1
; LDSByteSize: 20480 bytes/workgroup (compile time only)
; SGPRBlocks: 2
; VGPRBlocks: 5
; NumSGPRsForWavesPerEU: 22
; NumVGPRsForWavesPerEU: 46
; AccumOffset: 48
; Occupancy: 8
; WaveLimiterHint : 1
; COMPUTE_PGM_RSRC2:SCRATCH_EN: 0
; COMPUTE_PGM_RSRC2:USER_SGPR: 2
; COMPUTE_PGM_RSRC2:TRAP_HANDLER: 0
; COMPUTE_PGM_RSRC2:TGID_X_EN: 1
; COMPUTE_PGM_RSRC2:TGID_Y_EN: 1
; COMPUTE_PGM_RSRC2:TGID_Z_EN: 0
; COMPUTE_PGM_RSRC2:TIDIG_COMP_CNT: 0
; COMPUTE_PGM_RSRC3_GFX90A:ACCUM_OFFSET: 11
; COMPUTE_PGM_RSRC3_GFX90A:TG_SPLIT: 0
	.section	.text._ZN9rocsparseL49gtsv_nopivot_strided_batch_pcr_pow2_shared_kernelILj2E21rocsparse_complex_numIfEEEviiiPKT0_S5_S5_PS3_,"axG",@progbits,_ZN9rocsparseL49gtsv_nopivot_strided_batch_pcr_pow2_shared_kernelILj2E21rocsparse_complex_numIfEEEviiiPKT0_S5_S5_PS3_,comdat
	.globl	_ZN9rocsparseL49gtsv_nopivot_strided_batch_pcr_pow2_shared_kernelILj2E21rocsparse_complex_numIfEEEviiiPKT0_S5_S5_PS3_ ; -- Begin function _ZN9rocsparseL49gtsv_nopivot_strided_batch_pcr_pow2_shared_kernelILj2E21rocsparse_complex_numIfEEEviiiPKT0_S5_S5_PS3_
	.p2align	8
	.type	_ZN9rocsparseL49gtsv_nopivot_strided_batch_pcr_pow2_shared_kernelILj2E21rocsparse_complex_numIfEEEviiiPKT0_S5_S5_PS3_,@function
_ZN9rocsparseL49gtsv_nopivot_strided_batch_pcr_pow2_shared_kernelILj2E21rocsparse_complex_numIfEEEviiiPKT0_S5_S5_PS3_: ; @_ZN9rocsparseL49gtsv_nopivot_strided_batch_pcr_pow2_shared_kernelILj2E21rocsparse_complex_numIfEEEviiiPKT0_S5_S5_PS3_
; %bb.0:
	s_load_dword s3, s[0:1], 0x8
	s_load_dwordx8 s[4:11], s[0:1], 0x10
	v_lshlrev_b32_e32 v1, 3, v0
	v_cmp_eq_u32_e32 vcc, 0, v0
	s_waitcnt lgkmcnt(0)
	s_mul_i32 s3, s3, s2
	v_add_u32_e32 v2, s3, v0
	v_ashrrev_i32_e32 v3, 31, v2
	v_lshlrev_b64 v[2:3], 3, v[2:3]
	v_lshl_add_u64 v[4:5], s[4:5], 0, v[2:3]
	v_lshl_add_u64 v[6:7], s[6:7], 0, v[2:3]
	global_load_dwordx2 v[8:9], v[4:5], off
	global_load_dwordx2 v[10:11], v[6:7], off
	v_lshl_add_u64 v[4:5], s[8:9], 0, v[2:3]
	v_lshl_add_u64 v[2:3], s[10:11], 0, v[2:3]
	global_load_dwordx2 v[4:5], v[4:5], off
	s_nop 0
	global_load_dwordx2 v[6:7], v[2:3], off
	s_waitcnt vmcnt(2)
	ds_write2_b64 v1, v[8:9], v[10:11] offset1:4
	s_waitcnt vmcnt(0)
	ds_write2_b64 v1, v[4:5], v[6:7] offset0:8 offset1:16
	s_waitcnt lgkmcnt(0)
	; wave barrier
	s_and_saveexec_b64 s[0:1], vcc
	s_cbranch_execz .LBB42_2
; %bb.1:
	v_or_b32_e32 v0, 32, v1
	v_or_b32_e32 v8, 64, v1
	v_mov_b32_e32 v23, 0
	v_or_b32_e32 v22, 0x80, v1
	ds_read2_b64 v[4:7], v23 offset0:1 offset1:5
	ds_read_b64 v[8:9], v8
	ds_read_b64 v[10:11], v0
	ds_read_b32 v0, v22
	ds_read_b64 v[12:13], v22
	s_waitcnt lgkmcnt(4)
	v_xor_b32_e32 v14, 0x80000000, v7
	s_waitcnt lgkmcnt(3)
	v_xor_b32_e32 v16, 0x80000000, v9
	v_mov_b32_e32 v15, v6
	v_mov_b32_e32 v17, v8
	s_waitcnt lgkmcnt(2)
	v_pk_mul_f32 v[18:19], v[10:11], v[14:15] op_sel:[1,0]
	v_pk_mul_f32 v[20:21], v[4:5], v[16:17] op_sel:[1,0]
	v_pk_fma_f32 v[18:19], v[6:7], v[10:11], v[18:19] op_sel_hi:[1,0,1]
	v_pk_fma_f32 v[20:21], v[8:9], v[4:5], v[20:21] op_sel_hi:[1,0,1]
	s_nop 0
	v_pk_add_f32 v[18:19], v[18:19], v[20:21] neg_lo:[0,1] neg_hi:[0,1]
	ds_read_b32 v20, v22 offset:4
	v_mul_f32_e32 v21, v19, v19
	v_fmac_f32_e32 v21, v18, v18
	v_div_scale_f32 v24, s[2:3], v21, v21, 1.0
	v_rcp_f32_e32 v25, v24
	s_nop 0
	v_fma_f32 v22, -v24, v25, 1.0
	v_fmac_f32_e32 v25, v22, v25
	v_div_scale_f32 v22, vcc, 1.0, v21, 1.0
	v_mul_f32_e32 v26, v22, v25
	v_fma_f32 v27, -v24, v26, v22
	v_fmac_f32_e32 v26, v27, v25
	v_fma_f32 v22, -v24, v26, v22
	v_div_fmas_f32 v22, v22, v25, v26
	ds_read_b32 v24, v23 offset:140
	ds_read_b32 v26, v23 offset:136
	ds_read_b64 v[28:29], v23 offset:136
	v_div_fixup_f32 v21, v22, v21, 1.0
	s_waitcnt lgkmcnt(3)
	v_pk_mul_f32 v[14:15], v[20:21], v[14:15] op_sel_hi:[0,1]
	v_pk_fma_f32 v[6:7], v[6:7], v[0:1], v[14:15] op_sel_hi:[1,0,1]
	s_waitcnt lgkmcnt(2)
	v_pk_mul_f32 v[14:15], v[24:25], v[16:17] op_sel_hi:[0,1]
	s_waitcnt lgkmcnt(1)
	v_pk_fma_f32 v[8:9], v[8:9], v[26:27], v[14:15] op_sel_hi:[1,0,1]
	v_fma_f32 v22, 0, v19, v18
	v_fma_f32 v18, v18, 0, -v19
	v_pk_add_f32 v[6:7], v[6:7], v[8:9] neg_lo:[0,1] neg_hi:[0,1]
	v_mul_f32_e32 v18, v18, v21
	v_xor_b32_e32 v8, 0x80000000, v7
	v_mov_b32_e32 v9, v6
	v_mul_f32_e32 v22, v22, v21
	v_pk_mul_f32 v[8:9], v[18:19], v[8:9] op_sel_hi:[0,1]
	v_pk_fma_f32 v[6:7], v[6:7], v[22:23], v[8:9] op_sel_hi:[1,0,1]
	s_waitcnt lgkmcnt(0)
	v_xor_b32_e32 v8, 0x80000000, v29
	v_mov_b32_e32 v9, v28
	v_pk_mul_f32 v[8:9], v[10:11], v[8:9] op_sel:[1,0]
	s_nop 0
	v_pk_fma_f32 v[8:9], v[28:29], v[10:11], v[8:9] op_sel_hi:[1,0,1]
	v_xor_b32_e32 v10, 0x80000000, v13
	v_mov_b32_e32 v11, v12
	v_pk_mul_f32 v[10:11], v[4:5], v[10:11] op_sel:[1,0]
	s_nop 0
	v_pk_fma_f32 v[4:5], v[12:13], v[4:5], v[10:11] op_sel_hi:[1,0,1]
	s_nop 0
	v_pk_add_f32 v[4:5], v[8:9], v[4:5] neg_lo:[0,1] neg_hi:[0,1]
	s_nop 0
	v_xor_b32_e32 v8, 0x80000000, v5
	v_mov_b32_e32 v9, v4
	v_pk_mul_f32 v[8:9], v[18:19], v[8:9] op_sel_hi:[0,1]
	v_pk_fma_f32 v[8:9], v[4:5], v[22:23], v[8:9] op_sel_hi:[1,0,1]
	ds_write_b128 v23, v[6:9] offset:96
.LBB42_2:
	s_or_b64 exec, exec, s[0:1]
	s_waitcnt lgkmcnt(0)
	; wave barrier
	ds_read_b64 v[0:1], v1 offset:96
	s_waitcnt lgkmcnt(0)
	global_store_dwordx2 v[2:3], v[0:1], off
	s_endpgm
	.section	.rodata,"a",@progbits
	.p2align	6, 0x0
	.amdhsa_kernel _ZN9rocsparseL49gtsv_nopivot_strided_batch_pcr_pow2_shared_kernelILj2E21rocsparse_complex_numIfEEEviiiPKT0_S5_S5_PS3_
		.amdhsa_group_segment_fixed_size 152
		.amdhsa_private_segment_fixed_size 0
		.amdhsa_kernarg_size 48
		.amdhsa_user_sgpr_count 2
		.amdhsa_user_sgpr_dispatch_ptr 0
		.amdhsa_user_sgpr_queue_ptr 0
		.amdhsa_user_sgpr_kernarg_segment_ptr 1
		.amdhsa_user_sgpr_dispatch_id 0
		.amdhsa_user_sgpr_kernarg_preload_length 0
		.amdhsa_user_sgpr_kernarg_preload_offset 0
		.amdhsa_user_sgpr_private_segment_size 0
		.amdhsa_uses_dynamic_stack 0
		.amdhsa_enable_private_segment 0
		.amdhsa_system_sgpr_workgroup_id_x 1
		.amdhsa_system_sgpr_workgroup_id_y 0
		.amdhsa_system_sgpr_workgroup_id_z 0
		.amdhsa_system_sgpr_workgroup_info 0
		.amdhsa_system_vgpr_workitem_id 0
		.amdhsa_next_free_vgpr 30
		.amdhsa_next_free_sgpr 12
		.amdhsa_accum_offset 32
		.amdhsa_reserve_vcc 1
		.amdhsa_float_round_mode_32 0
		.amdhsa_float_round_mode_16_64 0
		.amdhsa_float_denorm_mode_32 3
		.amdhsa_float_denorm_mode_16_64 3
		.amdhsa_dx10_clamp 1
		.amdhsa_ieee_mode 1
		.amdhsa_fp16_overflow 0
		.amdhsa_tg_split 0
		.amdhsa_exception_fp_ieee_invalid_op 0
		.amdhsa_exception_fp_denorm_src 0
		.amdhsa_exception_fp_ieee_div_zero 0
		.amdhsa_exception_fp_ieee_overflow 0
		.amdhsa_exception_fp_ieee_underflow 0
		.amdhsa_exception_fp_ieee_inexact 0
		.amdhsa_exception_int_div_zero 0
	.end_amdhsa_kernel
	.section	.text._ZN9rocsparseL49gtsv_nopivot_strided_batch_pcr_pow2_shared_kernelILj2E21rocsparse_complex_numIfEEEviiiPKT0_S5_S5_PS3_,"axG",@progbits,_ZN9rocsparseL49gtsv_nopivot_strided_batch_pcr_pow2_shared_kernelILj2E21rocsparse_complex_numIfEEEviiiPKT0_S5_S5_PS3_,comdat
.Lfunc_end42:
	.size	_ZN9rocsparseL49gtsv_nopivot_strided_batch_pcr_pow2_shared_kernelILj2E21rocsparse_complex_numIfEEEviiiPKT0_S5_S5_PS3_, .Lfunc_end42-_ZN9rocsparseL49gtsv_nopivot_strided_batch_pcr_pow2_shared_kernelILj2E21rocsparse_complex_numIfEEEviiiPKT0_S5_S5_PS3_
                                        ; -- End function
	.set _ZN9rocsparseL49gtsv_nopivot_strided_batch_pcr_pow2_shared_kernelILj2E21rocsparse_complex_numIfEEEviiiPKT0_S5_S5_PS3_.num_vgpr, 30
	.set _ZN9rocsparseL49gtsv_nopivot_strided_batch_pcr_pow2_shared_kernelILj2E21rocsparse_complex_numIfEEEviiiPKT0_S5_S5_PS3_.num_agpr, 0
	.set _ZN9rocsparseL49gtsv_nopivot_strided_batch_pcr_pow2_shared_kernelILj2E21rocsparse_complex_numIfEEEviiiPKT0_S5_S5_PS3_.numbered_sgpr, 12
	.set _ZN9rocsparseL49gtsv_nopivot_strided_batch_pcr_pow2_shared_kernelILj2E21rocsparse_complex_numIfEEEviiiPKT0_S5_S5_PS3_.num_named_barrier, 0
	.set _ZN9rocsparseL49gtsv_nopivot_strided_batch_pcr_pow2_shared_kernelILj2E21rocsparse_complex_numIfEEEviiiPKT0_S5_S5_PS3_.private_seg_size, 0
	.set _ZN9rocsparseL49gtsv_nopivot_strided_batch_pcr_pow2_shared_kernelILj2E21rocsparse_complex_numIfEEEviiiPKT0_S5_S5_PS3_.uses_vcc, 1
	.set _ZN9rocsparseL49gtsv_nopivot_strided_batch_pcr_pow2_shared_kernelILj2E21rocsparse_complex_numIfEEEviiiPKT0_S5_S5_PS3_.uses_flat_scratch, 0
	.set _ZN9rocsparseL49gtsv_nopivot_strided_batch_pcr_pow2_shared_kernelILj2E21rocsparse_complex_numIfEEEviiiPKT0_S5_S5_PS3_.has_dyn_sized_stack, 0
	.set _ZN9rocsparseL49gtsv_nopivot_strided_batch_pcr_pow2_shared_kernelILj2E21rocsparse_complex_numIfEEEviiiPKT0_S5_S5_PS3_.has_recursion, 0
	.set _ZN9rocsparseL49gtsv_nopivot_strided_batch_pcr_pow2_shared_kernelILj2E21rocsparse_complex_numIfEEEviiiPKT0_S5_S5_PS3_.has_indirect_call, 0
	.section	.AMDGPU.csdata,"",@progbits
; Kernel info:
; codeLenInByte = 664
; TotalNumSgprs: 18
; NumVgprs: 30
; NumAgprs: 0
; TotalNumVgprs: 30
; ScratchSize: 0
; MemoryBound: 0
; FloatMode: 240
; IeeeMode: 1
; LDSByteSize: 152 bytes/workgroup (compile time only)
; SGPRBlocks: 2
; VGPRBlocks: 3
; NumSGPRsForWavesPerEU: 18
; NumVGPRsForWavesPerEU: 30
; AccumOffset: 32
; Occupancy: 8
; WaveLimiterHint : 0
; COMPUTE_PGM_RSRC2:SCRATCH_EN: 0
; COMPUTE_PGM_RSRC2:USER_SGPR: 2
; COMPUTE_PGM_RSRC2:TRAP_HANDLER: 0
; COMPUTE_PGM_RSRC2:TGID_X_EN: 1
; COMPUTE_PGM_RSRC2:TGID_Y_EN: 0
; COMPUTE_PGM_RSRC2:TGID_Z_EN: 0
; COMPUTE_PGM_RSRC2:TIDIG_COMP_CNT: 0
; COMPUTE_PGM_RSRC3_GFX90A:ACCUM_OFFSET: 7
; COMPUTE_PGM_RSRC3_GFX90A:TG_SPLIT: 0
	.section	.text._ZN9rocsparseL49gtsv_nopivot_strided_batch_pcr_pow2_shared_kernelILj4E21rocsparse_complex_numIfEEEviiiPKT0_S5_S5_PS3_,"axG",@progbits,_ZN9rocsparseL49gtsv_nopivot_strided_batch_pcr_pow2_shared_kernelILj4E21rocsparse_complex_numIfEEEviiiPKT0_S5_S5_PS3_,comdat
	.globl	_ZN9rocsparseL49gtsv_nopivot_strided_batch_pcr_pow2_shared_kernelILj4E21rocsparse_complex_numIfEEEviiiPKT0_S5_S5_PS3_ ; -- Begin function _ZN9rocsparseL49gtsv_nopivot_strided_batch_pcr_pow2_shared_kernelILj4E21rocsparse_complex_numIfEEEviiiPKT0_S5_S5_PS3_
	.p2align	8
	.type	_ZN9rocsparseL49gtsv_nopivot_strided_batch_pcr_pow2_shared_kernelILj4E21rocsparse_complex_numIfEEEviiiPKT0_S5_S5_PS3_,@function
_ZN9rocsparseL49gtsv_nopivot_strided_batch_pcr_pow2_shared_kernelILj4E21rocsparse_complex_numIfEEEviiiPKT0_S5_S5_PS3_: ; @_ZN9rocsparseL49gtsv_nopivot_strided_batch_pcr_pow2_shared_kernelILj4E21rocsparse_complex_numIfEEEviiiPKT0_S5_S5_PS3_
; %bb.0:
	s_load_dword s3, s[0:1], 0x8
	s_load_dwordx8 s[4:11], s[0:1], 0x10
	v_min_u32_e32 v12, 2, v0
	v_sub_u32_e64 v13, v0, 1 clamp
	v_lshlrev_b32_e32 v1, 3, v0
	s_waitcnt lgkmcnt(0)
	s_mul_i32 s3, s3, s2
	v_add_u32_e32 v2, s3, v0
	v_ashrrev_i32_e32 v3, 31, v2
	v_lshlrev_b64 v[2:3], 3, v[2:3]
	v_lshl_add_u64 v[4:5], s[4:5], 0, v[2:3]
	v_lshl_add_u64 v[6:7], s[6:7], 0, v[2:3]
	global_load_dwordx2 v[8:9], v[4:5], off
	global_load_dwordx2 v[10:11], v[6:7], off
	v_lshl_add_u64 v[4:5], s[8:9], 0, v[2:3]
	v_lshl_add_u64 v[2:3], s[10:11], 0, v[2:3]
	global_load_dwordx2 v[4:5], v[4:5], off
	v_lshlrev_b32_e32 v20, 3, v13
	global_load_dwordx2 v[6:7], v[2:3], off
	v_lshlrev_b32_e32 v24, 3, v12
	s_waitcnt vmcnt(2)
	ds_write2_b64 v1, v[8:9], v[10:11] offset1:6
	s_waitcnt vmcnt(0)
	ds_write2_b64 v1, v[4:5], v[6:7] offset0:12 offset1:24
	s_waitcnt lgkmcnt(0)
	; wave barrier
	ds_read2_b64 v[4:7], v1 offset1:6
	ds_read2_b64 v[8:11], v20 offset1:6
	ds_read2_b64 v[12:15], v1 offset0:12 offset1:24
	ds_read2_b64 v[16:19], v24 offset0:1 offset1:7
	;; [unrolled: 1-line block ×4, first 2 shown]
	s_waitcnt lgkmcnt(4)
	v_mul_f32_e32 v40, v11, v11
	v_fmac_f32_e32 v40, v10, v10
	s_waitcnt lgkmcnt(2)
	v_mul_f32_e32 v43, v19, v19
	v_mul_f32_e32 v44, v19, v13
	;; [unrolled: 1-line block ×3, first 2 shown]
	v_mul_f32_e64 v42, v11, -v4
	v_mul_f32_e64 v19, v19, -v12
	v_pk_add_f32 v[28:29], v[8:9], 0 neg_lo:[1,1] neg_hi:[1,1]
	v_fmac_f32_e32 v43, v18, v18
	v_fmac_f32_e32 v44, v12, v18
	v_div_scale_f32 v12, s[0:1], v40, v40, 1.0
	v_fmac_f32_e32 v41, v4, v10
	v_fmac_f32_e32 v42, v5, v10
	;; [unrolled: 1-line block ×3, first 2 shown]
	v_pk_mov_b32 v[4:5], v[8:9], v[28:29] op_sel:[1,0]
	v_div_scale_f32 v18, s[0:1], v43, v43, 1.0
	v_rcp_f32_e32 v28, v12
	v_rcp_f32_e32 v29, v18
	s_waitcnt lgkmcnt(0)
	v_pk_add_f32 v[34:35], v[24:25], 0 neg_lo:[1,1] neg_hi:[1,1]
	v_div_scale_f32 v13, vcc, 1.0, v40, 1.0
	v_pk_mov_b32 v[10:11], v[24:25], v[34:35] op_sel:[1,0]
	v_fma_f32 v35, -v12, v28, 1.0
	v_fma_f32 v45, -v18, v29, 1.0
	v_fmac_f32_e32 v28, v35, v28
	v_div_scale_f32 v34, s[0:1], 1.0, v43, 1.0
	v_fmac_f32_e32 v29, v45, v29
	v_mul_f32_e32 v35, v13, v28
	v_mul_f32_e32 v45, v34, v29
	v_fma_f32 v46, -v12, v35, v13
	v_fma_f32 v47, -v18, v45, v34
	v_fmac_f32_e32 v35, v46, v28
	v_fmac_f32_e32 v45, v47, v29
	v_fma_f32 v12, -v12, v35, v13
	v_fma_f32 v13, -v18, v45, v34
	v_div_fmas_f32 v12, v12, v28, v35
	s_mov_b64 vcc, s[0:1]
	v_div_fixup_f32 v18, v12, v40, 1.0
	v_div_fmas_f32 v13, v13, v29, v45
	v_xor_b32_e32 v30, 0x80000000, v21
	v_mov_b32_e32 v31, v20
	v_mul_f32_e32 v12, v18, v41
	v_mul_f32_e32 v18, v42, v18
	v_div_fixup_f32 v13, v13, v43, 1.0
	v_xor_b32_e32 v32, 0x80000000, v17
	v_mov_b32_e32 v33, v16
	v_xor_b32_e32 v36, 0x80000000, v23
	v_mov_b32_e32 v37, v22
	v_mul_f32_e32 v34, v19, v13
	v_pk_mul_f32 v[4:5], v[18:19], v[4:5] op_sel_hi:[0,1]
	v_pk_mul_f32 v[30:31], v[18:19], v[30:31] op_sel_hi:[0,1]
	v_xor_b32_e32 v38, 0x80000000, v27
	v_mov_b32_e32 v39, v26
	v_mul_f32_e32 v28, v13, v44
	v_pk_mul_f32 v[18:19], v[18:19], v[36:37] op_sel_hi:[0,1]
	v_pk_fma_f32 v[4:5], v[8:9], v[12:13], v[4:5] op_sel_hi:[1,0,1] neg_lo:[1,0,0] neg_hi:[1,0,0]
	v_pk_fma_f32 v[8:9], v[20:21], v[12:13], v[30:31] op_sel_hi:[1,0,1]
	v_pk_mul_f32 v[20:21], v[34:35], v[32:33] op_sel_hi:[0,1]
	v_pk_fma_f32 v[12:13], v[22:23], v[12:13], v[18:19] op_sel_hi:[1,0,1]
	v_pk_mul_f32 v[18:19], v[34:35], v[38:39] op_sel_hi:[0,1]
	v_pk_add_f32 v[6:7], v[6:7], v[8:9] neg_lo:[0,1] neg_hi:[0,1]
	v_pk_fma_f32 v[8:9], v[16:17], v[28:29], v[20:21] op_sel_hi:[1,0,1]
	v_pk_mul_f32 v[10:11], v[34:35], v[10:11] op_sel_hi:[0,1]
	v_pk_add_f32 v[12:13], v[14:15], v[12:13] neg_lo:[0,1] neg_hi:[0,1]
	v_pk_fma_f32 v[14:15], v[26:27], v[28:29], v[18:19] op_sel_hi:[1,0,1]
	v_pk_add_f32 v[6:7], v[6:7], v[8:9] neg_lo:[0,1] neg_hi:[0,1]
	v_cmp_gt_u32_e32 vcc, 2, v0
	; wave barrier
	v_pk_fma_f32 v[10:11], v[24:25], v[28:29], v[10:11] op_sel_hi:[1,0,1] neg_lo:[1,0,0] neg_hi:[1,0,0]
	v_pk_add_f32 v[8:9], v[12:13], v[14:15] neg_lo:[0,1] neg_hi:[0,1]
	ds_write2_b64 v1, v[4:5], v[6:7] offset1:6
	ds_write2_b64 v1, v[10:11], v[8:9] offset0:12 offset1:24
	s_waitcnt lgkmcnt(0)
	; wave barrier
	s_and_saveexec_b64 s[0:1], vcc
	s_cbranch_execz .LBB43_2
; %bb.1:
	v_add_u32_e32 v0, 48, v1
	v_or_b32_e32 v8, 0x60, v1
	v_or_b32_e32 v24, 0xc0, v1
	ds_read2_b64 v[4:7], v0 offset1:2
	ds_read_b64 v[8:9], v8
	ds_read_b32 v0, v24
	ds_read_b64 v[10:11], v24
	ds_read_b64 v[12:13], v1 offset:16
	s_waitcnt lgkmcnt(4)
	v_xor_b32_e32 v14, 0x80000000, v7
	s_waitcnt lgkmcnt(3)
	v_xor_b32_e32 v16, 0x80000000, v9
	v_mov_b32_e32 v15, v6
	v_mov_b32_e32 v17, v8
	v_pk_mul_f32 v[18:19], v[4:5], v[14:15] op_sel:[1,0]
	s_waitcnt lgkmcnt(0)
	v_pk_mul_f32 v[20:21], v[12:13], v[16:17] op_sel:[1,0]
	v_pk_fma_f32 v[18:19], v[6:7], v[4:5], v[18:19] op_sel_hi:[1,0,1]
	v_pk_fma_f32 v[20:21], v[8:9], v[12:13], v[20:21] op_sel_hi:[1,0,1]
	s_nop 0
	v_pk_add_f32 v[18:19], v[18:19], v[20:21] neg_lo:[0,1] neg_hi:[0,1]
	ds_read2_b32 v[20:21], v24 offset0:1 offset1:4
	ds_read_b64 v[22:23], v24 offset:16
	ds_read_b32 v24, v24 offset:20
	v_mul_f32_e32 v25, v19, v19
	v_fmac_f32_e32 v25, v18, v18
	v_div_scale_f32 v26, s[2:3], v25, v25, 1.0
	v_rcp_f32_e32 v27, v26
	s_waitcnt lgkmcnt(2)
	v_pk_mul_f32 v[14:15], v[20:21], v[14:15] op_sel_hi:[0,1]
	v_pk_fma_f32 v[6:7], v[6:7], v[0:1], v[14:15] op_sel_hi:[1,0,1]
	v_mov_b32_e32 v0, v21
	v_fma_f32 v28, -v26, v27, 1.0
	v_fmac_f32_e32 v27, v28, v27
	v_div_scale_f32 v28, vcc, 1.0, v25, 1.0
	v_mul_f32_e32 v29, v28, v27
	v_fma_f32 v30, -v26, v29, v28
	v_fmac_f32_e32 v29, v30, v27
	v_fma_f32 v26, -v26, v29, v28
	v_div_fmas_f32 v26, v26, v27, v29
	v_div_fixup_f32 v25, v26, v25, 1.0
	s_waitcnt lgkmcnt(0)
	v_pk_mul_f32 v[14:15], v[24:25], v[16:17] op_sel_hi:[0,1]
	v_pk_fma_f32 v[8:9], v[8:9], v[0:1], v[14:15] op_sel_hi:[1,0,1]
	v_fma_f32 v26, 0, v19, v18
	v_fma_f32 v18, v18, 0, -v19
	v_pk_add_f32 v[6:7], v[6:7], v[8:9] neg_lo:[0,1] neg_hi:[0,1]
	v_mul_f32_e32 v18, v18, v25
	v_xor_b32_e32 v8, 0x80000000, v7
	v_mov_b32_e32 v9, v6
	v_mul_f32_e32 v26, v26, v25
	v_pk_mul_f32 v[8:9], v[18:19], v[8:9] op_sel_hi:[0,1]
	v_pk_fma_f32 v[6:7], v[6:7], v[26:27], v[8:9] op_sel_hi:[1,0,1]
	v_xor_b32_e32 v8, 0x80000000, v23
	v_mov_b32_e32 v9, v22
	v_pk_mul_f32 v[8:9], v[4:5], v[8:9] op_sel:[1,0]
	s_nop 0
	v_pk_fma_f32 v[4:5], v[22:23], v[4:5], v[8:9] op_sel_hi:[1,0,1]
	v_xor_b32_e32 v8, 0x80000000, v11
	v_mov_b32_e32 v9, v10
	v_pk_mul_f32 v[8:9], v[12:13], v[8:9] op_sel:[1,0]
	s_nop 0
	v_pk_fma_f32 v[8:9], v[10:11], v[12:13], v[8:9] op_sel_hi:[1,0,1]
	s_nop 0
	v_pk_add_f32 v[4:5], v[4:5], v[8:9] neg_lo:[0,1] neg_hi:[0,1]
	s_nop 0
	v_xor_b32_e32 v8, 0x80000000, v5
	v_mov_b32_e32 v9, v4
	v_pk_mul_f32 v[8:9], v[18:19], v[8:9] op_sel_hi:[0,1]
	v_pk_fma_f32 v[4:5], v[4:5], v[26:27], v[8:9] op_sel_hi:[1,0,1]
	ds_write2_b64 v1, v[6:7], v[4:5] offset0:18 offset1:20
.LBB43_2:
	s_or_b64 exec, exec, s[0:1]
	s_waitcnt lgkmcnt(0)
	; wave barrier
	ds_read_b64 v[0:1], v1 offset:144
	s_waitcnt lgkmcnt(0)
	global_store_dwordx2 v[2:3], v[0:1], off
	s_endpgm
	.section	.rodata,"a",@progbits
	.p2align	6, 0x0
	.amdhsa_kernel _ZN9rocsparseL49gtsv_nopivot_strided_batch_pcr_pow2_shared_kernelILj4E21rocsparse_complex_numIfEEEviiiPKT0_S5_S5_PS3_
		.amdhsa_group_segment_fixed_size 232
		.amdhsa_private_segment_fixed_size 0
		.amdhsa_kernarg_size 48
		.amdhsa_user_sgpr_count 2
		.amdhsa_user_sgpr_dispatch_ptr 0
		.amdhsa_user_sgpr_queue_ptr 0
		.amdhsa_user_sgpr_kernarg_segment_ptr 1
		.amdhsa_user_sgpr_dispatch_id 0
		.amdhsa_user_sgpr_kernarg_preload_length 0
		.amdhsa_user_sgpr_kernarg_preload_offset 0
		.amdhsa_user_sgpr_private_segment_size 0
		.amdhsa_uses_dynamic_stack 0
		.amdhsa_enable_private_segment 0
		.amdhsa_system_sgpr_workgroup_id_x 1
		.amdhsa_system_sgpr_workgroup_id_y 0
		.amdhsa_system_sgpr_workgroup_id_z 0
		.amdhsa_system_sgpr_workgroup_info 0
		.amdhsa_system_vgpr_workitem_id 0
		.amdhsa_next_free_vgpr 48
		.amdhsa_next_free_sgpr 12
		.amdhsa_accum_offset 48
		.amdhsa_reserve_vcc 1
		.amdhsa_float_round_mode_32 0
		.amdhsa_float_round_mode_16_64 0
		.amdhsa_float_denorm_mode_32 3
		.amdhsa_float_denorm_mode_16_64 3
		.amdhsa_dx10_clamp 1
		.amdhsa_ieee_mode 1
		.amdhsa_fp16_overflow 0
		.amdhsa_tg_split 0
		.amdhsa_exception_fp_ieee_invalid_op 0
		.amdhsa_exception_fp_denorm_src 0
		.amdhsa_exception_fp_ieee_div_zero 0
		.amdhsa_exception_fp_ieee_overflow 0
		.amdhsa_exception_fp_ieee_underflow 0
		.amdhsa_exception_fp_ieee_inexact 0
		.amdhsa_exception_int_div_zero 0
	.end_amdhsa_kernel
	.section	.text._ZN9rocsparseL49gtsv_nopivot_strided_batch_pcr_pow2_shared_kernelILj4E21rocsparse_complex_numIfEEEviiiPKT0_S5_S5_PS3_,"axG",@progbits,_ZN9rocsparseL49gtsv_nopivot_strided_batch_pcr_pow2_shared_kernelILj4E21rocsparse_complex_numIfEEEviiiPKT0_S5_S5_PS3_,comdat
.Lfunc_end43:
	.size	_ZN9rocsparseL49gtsv_nopivot_strided_batch_pcr_pow2_shared_kernelILj4E21rocsparse_complex_numIfEEEviiiPKT0_S5_S5_PS3_, .Lfunc_end43-_ZN9rocsparseL49gtsv_nopivot_strided_batch_pcr_pow2_shared_kernelILj4E21rocsparse_complex_numIfEEEviiiPKT0_S5_S5_PS3_
                                        ; -- End function
	.set _ZN9rocsparseL49gtsv_nopivot_strided_batch_pcr_pow2_shared_kernelILj4E21rocsparse_complex_numIfEEEviiiPKT0_S5_S5_PS3_.num_vgpr, 48
	.set _ZN9rocsparseL49gtsv_nopivot_strided_batch_pcr_pow2_shared_kernelILj4E21rocsparse_complex_numIfEEEviiiPKT0_S5_S5_PS3_.num_agpr, 0
	.set _ZN9rocsparseL49gtsv_nopivot_strided_batch_pcr_pow2_shared_kernelILj4E21rocsparse_complex_numIfEEEviiiPKT0_S5_S5_PS3_.numbered_sgpr, 12
	.set _ZN9rocsparseL49gtsv_nopivot_strided_batch_pcr_pow2_shared_kernelILj4E21rocsparse_complex_numIfEEEviiiPKT0_S5_S5_PS3_.num_named_barrier, 0
	.set _ZN9rocsparseL49gtsv_nopivot_strided_batch_pcr_pow2_shared_kernelILj4E21rocsparse_complex_numIfEEEviiiPKT0_S5_S5_PS3_.private_seg_size, 0
	.set _ZN9rocsparseL49gtsv_nopivot_strided_batch_pcr_pow2_shared_kernelILj4E21rocsparse_complex_numIfEEEviiiPKT0_S5_S5_PS3_.uses_vcc, 1
	.set _ZN9rocsparseL49gtsv_nopivot_strided_batch_pcr_pow2_shared_kernelILj4E21rocsparse_complex_numIfEEEviiiPKT0_S5_S5_PS3_.uses_flat_scratch, 0
	.set _ZN9rocsparseL49gtsv_nopivot_strided_batch_pcr_pow2_shared_kernelILj4E21rocsparse_complex_numIfEEEviiiPKT0_S5_S5_PS3_.has_dyn_sized_stack, 0
	.set _ZN9rocsparseL49gtsv_nopivot_strided_batch_pcr_pow2_shared_kernelILj4E21rocsparse_complex_numIfEEEviiiPKT0_S5_S5_PS3_.has_recursion, 0
	.set _ZN9rocsparseL49gtsv_nopivot_strided_batch_pcr_pow2_shared_kernelILj4E21rocsparse_complex_numIfEEEviiiPKT0_S5_S5_PS3_.has_indirect_call, 0
	.section	.AMDGPU.csdata,"",@progbits
; Kernel info:
; codeLenInByte = 1172
; TotalNumSgprs: 18
; NumVgprs: 48
; NumAgprs: 0
; TotalNumVgprs: 48
; ScratchSize: 0
; MemoryBound: 0
; FloatMode: 240
; IeeeMode: 1
; LDSByteSize: 232 bytes/workgroup (compile time only)
; SGPRBlocks: 2
; VGPRBlocks: 5
; NumSGPRsForWavesPerEU: 18
; NumVGPRsForWavesPerEU: 48
; AccumOffset: 48
; Occupancy: 8
; WaveLimiterHint : 0
; COMPUTE_PGM_RSRC2:SCRATCH_EN: 0
; COMPUTE_PGM_RSRC2:USER_SGPR: 2
; COMPUTE_PGM_RSRC2:TRAP_HANDLER: 0
; COMPUTE_PGM_RSRC2:TGID_X_EN: 1
; COMPUTE_PGM_RSRC2:TGID_Y_EN: 0
; COMPUTE_PGM_RSRC2:TGID_Z_EN: 0
; COMPUTE_PGM_RSRC2:TIDIG_COMP_CNT: 0
; COMPUTE_PGM_RSRC3_GFX90A:ACCUM_OFFSET: 11
; COMPUTE_PGM_RSRC3_GFX90A:TG_SPLIT: 0
	.section	.text._ZN9rocsparseL49gtsv_nopivot_strided_batch_pcr_pow2_shared_kernelILj8E21rocsparse_complex_numIfEEEviiiPKT0_S5_S5_PS3_,"axG",@progbits,_ZN9rocsparseL49gtsv_nopivot_strided_batch_pcr_pow2_shared_kernelILj8E21rocsparse_complex_numIfEEEviiiPKT0_S5_S5_PS3_,comdat
	.globl	_ZN9rocsparseL49gtsv_nopivot_strided_batch_pcr_pow2_shared_kernelILj8E21rocsparse_complex_numIfEEEviiiPKT0_S5_S5_PS3_ ; -- Begin function _ZN9rocsparseL49gtsv_nopivot_strided_batch_pcr_pow2_shared_kernelILj8E21rocsparse_complex_numIfEEEviiiPKT0_S5_S5_PS3_
	.p2align	8
	.type	_ZN9rocsparseL49gtsv_nopivot_strided_batch_pcr_pow2_shared_kernelILj8E21rocsparse_complex_numIfEEEviiiPKT0_S5_S5_PS3_,@function
_ZN9rocsparseL49gtsv_nopivot_strided_batch_pcr_pow2_shared_kernelILj8E21rocsparse_complex_numIfEEEviiiPKT0_S5_S5_PS3_: ; @_ZN9rocsparseL49gtsv_nopivot_strided_batch_pcr_pow2_shared_kernelILj8E21rocsparse_complex_numIfEEEviiiPKT0_S5_S5_PS3_
; %bb.0:
	s_load_dword s3, s[0:1], 0x8
	s_load_dwordx8 s[4:11], s[0:1], 0x10
	v_min_u32_e32 v12, 6, v0
	v_sub_u32_e64 v13, v0, 1 clamp
	v_lshlrev_b32_e32 v1, 3, v0
	s_waitcnt lgkmcnt(0)
	s_mul_i32 s3, s3, s2
	v_add_u32_e32 v2, s3, v0
	v_ashrrev_i32_e32 v3, 31, v2
	v_lshlrev_b64 v[2:3], 3, v[2:3]
	v_lshl_add_u64 v[4:5], s[4:5], 0, v[2:3]
	v_lshl_add_u64 v[6:7], s[6:7], 0, v[2:3]
	global_load_dwordx2 v[8:9], v[4:5], off
	global_load_dwordx2 v[10:11], v[6:7], off
	v_lshl_add_u64 v[4:5], s[8:9], 0, v[2:3]
	v_lshl_add_u64 v[2:3], s[10:11], 0, v[2:3]
	global_load_dwordx2 v[4:5], v[4:5], off
	v_sub_u32_e64 v14, v0, 2 clamp
	global_load_dwordx2 v[6:7], v[2:3], off
	v_lshlrev_b32_e32 v20, 3, v13
	v_lshlrev_b32_e32 v24, 3, v12
	;; [unrolled: 1-line block ×3, first 2 shown]
	s_waitcnt vmcnt(2)
	ds_write2_b64 v1, v[8:9], v[10:11] offset1:10
	s_waitcnt vmcnt(0)
	ds_write2_b64 v1, v[4:5], v[6:7] offset0:20 offset1:40
	s_waitcnt lgkmcnt(0)
	; wave barrier
	ds_read2_b64 v[4:7], v1 offset1:10
	ds_read2_b64 v[8:11], v20 offset1:10
	ds_read2_b64 v[12:15], v1 offset0:20 offset1:40
	ds_read2_b64 v[16:19], v24 offset0:1 offset1:11
	;; [unrolled: 1-line block ×4, first 2 shown]
	s_waitcnt lgkmcnt(4)
	v_mul_f32_e32 v41, v11, v11
	v_fmac_f32_e32 v41, v10, v10
	s_waitcnt lgkmcnt(2)
	v_mul_f32_e32 v44, v19, v19
	v_mul_f32_e32 v45, v19, v13
	;; [unrolled: 1-line block ×3, first 2 shown]
	v_mul_f32_e64 v43, v11, -v4
	v_mul_f32_e64 v19, v19, -v12
	v_pk_add_f32 v[28:29], v[8:9], 0 neg_lo:[1,1] neg_hi:[1,1]
	v_fmac_f32_e32 v44, v18, v18
	v_fmac_f32_e32 v45, v12, v18
	v_div_scale_f32 v12, s[0:1], v41, v41, 1.0
	v_fmac_f32_e32 v42, v4, v10
	v_fmac_f32_e32 v43, v5, v10
	;; [unrolled: 1-line block ×3, first 2 shown]
	v_pk_mov_b32 v[4:5], v[8:9], v[28:29] op_sel:[1,0]
	v_div_scale_f32 v18, s[0:1], v44, v44, 1.0
	v_rcp_f32_e32 v28, v12
	v_rcp_f32_e32 v29, v18
	s_waitcnt lgkmcnt(0)
	v_pk_add_f32 v[34:35], v[24:25], 0 neg_lo:[1,1] neg_hi:[1,1]
	v_div_scale_f32 v13, vcc, 1.0, v41, 1.0
	v_pk_mov_b32 v[10:11], v[24:25], v[34:35] op_sel:[1,0]
	v_fma_f32 v35, -v12, v28, 1.0
	v_fma_f32 v46, -v18, v29, 1.0
	v_fmac_f32_e32 v28, v35, v28
	v_div_scale_f32 v34, s[0:1], 1.0, v44, 1.0
	v_fmac_f32_e32 v29, v46, v29
	v_mul_f32_e32 v35, v13, v28
	v_mul_f32_e32 v46, v34, v29
	v_fma_f32 v47, -v12, v35, v13
	v_fma_f32 v48, -v18, v46, v34
	v_fmac_f32_e32 v35, v47, v28
	v_fmac_f32_e32 v46, v48, v29
	v_fma_f32 v12, -v12, v35, v13
	v_fma_f32 v13, -v18, v46, v34
	v_div_fmas_f32 v12, v12, v28, v35
	s_mov_b64 vcc, s[0:1]
	v_div_fixup_f32 v18, v12, v41, 1.0
	v_div_fmas_f32 v13, v13, v29, v46
	v_xor_b32_e32 v30, 0x80000000, v21
	v_mov_b32_e32 v31, v20
	v_xor_b32_e32 v36, 0x80000000, v23
	v_mov_b32_e32 v37, v22
	v_mul_f32_e32 v12, v18, v42
	v_mul_f32_e32 v18, v43, v18
	v_div_fixup_f32 v13, v13, v44, 1.0
	v_xor_b32_e32 v32, 0x80000000, v17
	v_mov_b32_e32 v33, v16
	v_xor_b32_e32 v38, 0x80000000, v27
	v_mov_b32_e32 v39, v26
	v_mul_f32_e32 v34, v19, v13
	v_pk_mul_f32 v[4:5], v[18:19], v[4:5] op_sel_hi:[0,1]
	v_pk_mul_f32 v[30:31], v[18:19], v[30:31] op_sel_hi:[0,1]
	;; [unrolled: 1-line block ×3, first 2 shown]
	v_mul_f32_e32 v28, v13, v45
	v_pk_fma_f32 v[4:5], v[8:9], v[12:13], v[4:5] op_sel_hi:[1,0,1] neg_lo:[1,0,0] neg_hi:[1,0,0]
	v_pk_fma_f32 v[8:9], v[20:21], v[12:13], v[30:31] op_sel_hi:[1,0,1]
	v_pk_mul_f32 v[20:21], v[34:35], v[32:33] op_sel_hi:[0,1]
	v_pk_fma_f32 v[12:13], v[22:23], v[12:13], v[18:19] op_sel_hi:[1,0,1]
	v_pk_mul_f32 v[18:19], v[34:35], v[38:39] op_sel_hi:[0,1]
	v_pk_mul_f32 v[10:11], v[34:35], v[10:11] op_sel_hi:[0,1]
	v_pk_add_f32 v[6:7], v[6:7], v[8:9] neg_lo:[0,1] neg_hi:[0,1]
	v_pk_fma_f32 v[8:9], v[16:17], v[28:29], v[20:21] op_sel_hi:[1,0,1]
	v_pk_add_f32 v[12:13], v[14:15], v[12:13] neg_lo:[0,1] neg_hi:[0,1]
	v_pk_fma_f32 v[14:15], v[26:27], v[28:29], v[18:19] op_sel_hi:[1,0,1]
	v_pk_fma_f32 v[10:11], v[24:25], v[28:29], v[10:11] op_sel_hi:[1,0,1] neg_lo:[1,0,0] neg_hi:[1,0,0]
	v_pk_add_f32 v[6:7], v[6:7], v[8:9] neg_lo:[0,1] neg_hi:[0,1]
	v_pk_add_f32 v[8:9], v[12:13], v[14:15] neg_lo:[0,1] neg_hi:[0,1]
	; wave barrier
	ds_write2_b64 v1, v[4:5], v[6:7] offset1:10
	ds_write2_b64 v1, v[10:11], v[8:9] offset0:20 offset1:40
	s_waitcnt lgkmcnt(0)
	; wave barrier
	ds_read2_b64 v[4:7], v40 offset1:10
	ds_read2_b64 v[8:11], v1 offset1:10
	v_min_u32_e32 v12, 5, v0
	v_lshlrev_b32_e32 v18, 3, v12
	ds_read2_b64 v[12:15], v18 offset0:2 offset1:12
	s_waitcnt lgkmcnt(2)
	v_mul_f32_e32 v16, v7, v7
	v_fmac_f32_e32 v16, v6, v6
	v_div_scale_f32 v19, s[0:1], v16, v16, 1.0
	v_rcp_f32_e32 v20, v19
	s_waitcnt lgkmcnt(1)
	v_mul_f32_e32 v17, v7, v9
	v_mul_f32_e64 v7, v7, -v8
	v_fmac_f32_e32 v17, v8, v6
	v_fma_f32 v21, -v19, v20, 1.0
	v_div_scale_f32 v8, vcc, 1.0, v16, 1.0
	v_fmac_f32_e32 v20, v21, v20
	v_mul_f32_e32 v21, v8, v20
	v_fma_f32 v22, -v19, v21, v8
	v_fmac_f32_e32 v21, v22, v20
	v_fma_f32 v8, -v19, v21, v8
	v_div_fmas_f32 v8, v8, v20, v21
	v_div_fixup_f32 v8, v8, v16, 1.0
	s_waitcnt lgkmcnt(0)
	v_mul_f32_e32 v16, v15, v15
	v_fmac_f32_e32 v16, v14, v14
	v_mul_f32_e32 v22, v8, v17
	v_div_scale_f32 v17, s[0:1], v16, v16, 1.0
	v_rcp_f32_e32 v19, v17
	v_fmac_f32_e32 v7, v9, v6
	v_mul_f32_e32 v24, v7, v8
	ds_read2_b64 v[6:9], v1 offset0:20 offset1:40
	v_fma_f32 v20, -v17, v19, 1.0
	v_fmac_f32_e32 v19, v20, v19
	v_div_scale_f32 v20, vcc, 1.0, v16, 1.0
	v_mul_f32_e32 v21, v20, v19
	v_fma_f32 v23, -v17, v21, v20
	v_fmac_f32_e32 v21, v23, v19
	v_fma_f32 v17, -v17, v21, v20
	v_div_fmas_f32 v17, v17, v19, v21
	v_div_fixup_f32 v16, v17, v16, 1.0
	s_waitcnt lgkmcnt(0)
	v_mul_f32_e32 v17, v15, v7
	v_fmac_f32_e32 v17, v6, v14
	v_mul_f32_e64 v6, v15, -v6
	v_fmac_f32_e32 v6, v7, v14
	v_mul_f32_e32 v26, v16, v17
	v_mul_f32_e32 v6, v6, v16
	ds_read2_b64 v[14:17], v40 offset0:20 offset1:40
	ds_read2_b64 v[18:21], v18 offset0:22 offset1:42
	v_pk_add_f32 v[28:29], v[4:5], 0 neg_lo:[1,1] neg_hi:[1,1]
	v_cmp_gt_u32_e32 vcc, 4, v0
	v_pk_mov_b32 v[28:29], v[4:5], v[28:29] op_sel:[1,0]
	s_waitcnt lgkmcnt(0)
	v_pk_mul_f32 v[28:29], v[24:25], v[28:29] op_sel_hi:[0,1]
	v_pk_fma_f32 v[4:5], v[4:5], v[22:23], v[28:29] op_sel_hi:[1,0,1] neg_lo:[1,0,0] neg_hi:[1,0,0]
	v_xor_b32_e32 v28, 0x80000000, v15
	v_mov_b32_e32 v29, v14
	v_pk_mul_f32 v[28:29], v[24:25], v[28:29] op_sel_hi:[0,1]
	v_pk_fma_f32 v[14:15], v[14:15], v[22:23], v[28:29] op_sel_hi:[1,0,1]
	; wave barrier
	s_nop 0
	v_pk_add_f32 v[10:11], v[10:11], v[14:15] neg_lo:[0,1] neg_hi:[0,1]
	v_xor_b32_e32 v14, 0x80000000, v13
	v_mov_b32_e32 v15, v12
	v_pk_mul_f32 v[14:15], v[6:7], v[14:15] op_sel_hi:[0,1]
	v_pk_fma_f32 v[12:13], v[12:13], v[26:27], v[14:15] op_sel_hi:[1,0,1]
	v_xor_b32_e32 v14, 0x80000000, v17
	v_mov_b32_e32 v15, v16
	v_pk_mul_f32 v[14:15], v[24:25], v[14:15] op_sel_hi:[0,1]
	v_pk_add_f32 v[10:11], v[10:11], v[12:13] neg_lo:[0,1] neg_hi:[0,1]
	v_pk_add_f32 v[12:13], v[18:19], 0 neg_lo:[1,1] neg_hi:[1,1]
	v_pk_fma_f32 v[14:15], v[16:17], v[22:23], v[14:15] op_sel_hi:[1,0,1]
	v_pk_mov_b32 v[12:13], v[18:19], v[12:13] op_sel:[1,0]
	v_pk_add_f32 v[8:9], v[8:9], v[14:15] neg_lo:[0,1] neg_hi:[0,1]
	v_xor_b32_e32 v14, 0x80000000, v21
	v_mov_b32_e32 v15, v20
	v_pk_mul_f32 v[12:13], v[6:7], v[12:13] op_sel_hi:[0,1]
	v_pk_mul_f32 v[6:7], v[6:7], v[14:15] op_sel_hi:[0,1]
	v_pk_fma_f32 v[6:7], v[20:21], v[26:27], v[6:7] op_sel_hi:[1,0,1]
	v_pk_fma_f32 v[12:13], v[18:19], v[26:27], v[12:13] op_sel_hi:[1,0,1] neg_lo:[1,0,0] neg_hi:[1,0,0]
	v_pk_add_f32 v[6:7], v[8:9], v[6:7] neg_lo:[0,1] neg_hi:[0,1]
	ds_write2_b64 v1, v[4:5], v[10:11] offset1:10
	ds_write2_b64 v1, v[12:13], v[6:7] offset0:20 offset1:40
	s_waitcnt lgkmcnt(0)
	; wave barrier
	s_and_saveexec_b64 s[0:1], vcc
	s_cbranch_execz .LBB44_2
; %bb.1:
	v_add_u32_e32 v0, 0x50, v1
	v_add_u32_e32 v8, 0xa0, v1
	v_or_b32_e32 v24, 0x140, v1
	ds_read2_b64 v[4:7], v0 offset1:4
	ds_read_b64 v[8:9], v8
	ds_read_b32 v0, v24
	ds_read_b64 v[10:11], v24
	ds_read_b64 v[12:13], v1 offset:32
	s_waitcnt lgkmcnt(4)
	v_xor_b32_e32 v14, 0x80000000, v7
	s_waitcnt lgkmcnt(3)
	v_xor_b32_e32 v16, 0x80000000, v9
	v_mov_b32_e32 v15, v6
	v_mov_b32_e32 v17, v8
	v_pk_mul_f32 v[18:19], v[4:5], v[14:15] op_sel:[1,0]
	s_waitcnt lgkmcnt(0)
	v_pk_mul_f32 v[20:21], v[12:13], v[16:17] op_sel:[1,0]
	v_pk_fma_f32 v[18:19], v[6:7], v[4:5], v[18:19] op_sel_hi:[1,0,1]
	v_pk_fma_f32 v[20:21], v[8:9], v[12:13], v[20:21] op_sel_hi:[1,0,1]
	s_nop 0
	v_pk_add_f32 v[18:19], v[18:19], v[20:21] neg_lo:[0,1] neg_hi:[0,1]
	ds_read2_b32 v[20:21], v24 offset0:1 offset1:8
	ds_read_b64 v[22:23], v24 offset:32
	ds_read_b32 v24, v24 offset:36
	v_mul_f32_e32 v25, v19, v19
	v_fmac_f32_e32 v25, v18, v18
	v_div_scale_f32 v26, s[2:3], v25, v25, 1.0
	v_rcp_f32_e32 v27, v26
	s_waitcnt lgkmcnt(2)
	v_pk_mul_f32 v[14:15], v[20:21], v[14:15] op_sel_hi:[0,1]
	v_pk_fma_f32 v[6:7], v[6:7], v[0:1], v[14:15] op_sel_hi:[1,0,1]
	v_mov_b32_e32 v0, v21
	v_fma_f32 v28, -v26, v27, 1.0
	v_fmac_f32_e32 v27, v28, v27
	v_div_scale_f32 v28, vcc, 1.0, v25, 1.0
	v_mul_f32_e32 v29, v28, v27
	v_fma_f32 v30, -v26, v29, v28
	v_fmac_f32_e32 v29, v30, v27
	v_fma_f32 v26, -v26, v29, v28
	v_div_fmas_f32 v26, v26, v27, v29
	v_div_fixup_f32 v25, v26, v25, 1.0
	s_waitcnt lgkmcnt(0)
	v_pk_mul_f32 v[14:15], v[24:25], v[16:17] op_sel_hi:[0,1]
	v_pk_fma_f32 v[8:9], v[8:9], v[0:1], v[14:15] op_sel_hi:[1,0,1]
	v_fma_f32 v26, 0, v19, v18
	v_fma_f32 v18, v18, 0, -v19
	v_pk_add_f32 v[6:7], v[6:7], v[8:9] neg_lo:[0,1] neg_hi:[0,1]
	v_mul_f32_e32 v18, v18, v25
	v_xor_b32_e32 v8, 0x80000000, v7
	v_mov_b32_e32 v9, v6
	v_mul_f32_e32 v26, v26, v25
	v_pk_mul_f32 v[8:9], v[18:19], v[8:9] op_sel_hi:[0,1]
	v_pk_fma_f32 v[6:7], v[6:7], v[26:27], v[8:9] op_sel_hi:[1,0,1]
	v_xor_b32_e32 v8, 0x80000000, v23
	v_mov_b32_e32 v9, v22
	v_pk_mul_f32 v[8:9], v[4:5], v[8:9] op_sel:[1,0]
	s_nop 0
	v_pk_fma_f32 v[4:5], v[22:23], v[4:5], v[8:9] op_sel_hi:[1,0,1]
	v_xor_b32_e32 v8, 0x80000000, v11
	v_mov_b32_e32 v9, v10
	v_pk_mul_f32 v[8:9], v[12:13], v[8:9] op_sel:[1,0]
	s_nop 0
	v_pk_fma_f32 v[8:9], v[10:11], v[12:13], v[8:9] op_sel_hi:[1,0,1]
	s_nop 0
	v_pk_add_f32 v[4:5], v[4:5], v[8:9] neg_lo:[0,1] neg_hi:[0,1]
	s_nop 0
	v_xor_b32_e32 v8, 0x80000000, v5
	v_mov_b32_e32 v9, v4
	v_pk_mul_f32 v[8:9], v[18:19], v[8:9] op_sel_hi:[0,1]
	v_pk_fma_f32 v[4:5], v[4:5], v[26:27], v[8:9] op_sel_hi:[1,0,1]
	ds_write2_b64 v1, v[6:7], v[4:5] offset0:30 offset1:34
.LBB44_2:
	s_or_b64 exec, exec, s[0:1]
	s_waitcnt lgkmcnt(0)
	; wave barrier
	ds_read_b64 v[0:1], v1 offset:240
	s_waitcnt lgkmcnt(0)
	global_store_dwordx2 v[2:3], v[0:1], off
	s_endpgm
	.section	.rodata,"a",@progbits
	.p2align	6, 0x0
	.amdhsa_kernel _ZN9rocsparseL49gtsv_nopivot_strided_batch_pcr_pow2_shared_kernelILj8E21rocsparse_complex_numIfEEEviiiPKT0_S5_S5_PS3_
		.amdhsa_group_segment_fixed_size 392
		.amdhsa_private_segment_fixed_size 0
		.amdhsa_kernarg_size 48
		.amdhsa_user_sgpr_count 2
		.amdhsa_user_sgpr_dispatch_ptr 0
		.amdhsa_user_sgpr_queue_ptr 0
		.amdhsa_user_sgpr_kernarg_segment_ptr 1
		.amdhsa_user_sgpr_dispatch_id 0
		.amdhsa_user_sgpr_kernarg_preload_length 0
		.amdhsa_user_sgpr_kernarg_preload_offset 0
		.amdhsa_user_sgpr_private_segment_size 0
		.amdhsa_uses_dynamic_stack 0
		.amdhsa_enable_private_segment 0
		.amdhsa_system_sgpr_workgroup_id_x 1
		.amdhsa_system_sgpr_workgroup_id_y 0
		.amdhsa_system_sgpr_workgroup_id_z 0
		.amdhsa_system_sgpr_workgroup_info 0
		.amdhsa_system_vgpr_workitem_id 0
		.amdhsa_next_free_vgpr 49
		.amdhsa_next_free_sgpr 12
		.amdhsa_accum_offset 52
		.amdhsa_reserve_vcc 1
		.amdhsa_float_round_mode_32 0
		.amdhsa_float_round_mode_16_64 0
		.amdhsa_float_denorm_mode_32 3
		.amdhsa_float_denorm_mode_16_64 3
		.amdhsa_dx10_clamp 1
		.amdhsa_ieee_mode 1
		.amdhsa_fp16_overflow 0
		.amdhsa_tg_split 0
		.amdhsa_exception_fp_ieee_invalid_op 0
		.amdhsa_exception_fp_denorm_src 0
		.amdhsa_exception_fp_ieee_div_zero 0
		.amdhsa_exception_fp_ieee_overflow 0
		.amdhsa_exception_fp_ieee_underflow 0
		.amdhsa_exception_fp_ieee_inexact 0
		.amdhsa_exception_int_div_zero 0
	.end_amdhsa_kernel
	.section	.text._ZN9rocsparseL49gtsv_nopivot_strided_batch_pcr_pow2_shared_kernelILj8E21rocsparse_complex_numIfEEEviiiPKT0_S5_S5_PS3_,"axG",@progbits,_ZN9rocsparseL49gtsv_nopivot_strided_batch_pcr_pow2_shared_kernelILj8E21rocsparse_complex_numIfEEEviiiPKT0_S5_S5_PS3_,comdat
.Lfunc_end44:
	.size	_ZN9rocsparseL49gtsv_nopivot_strided_batch_pcr_pow2_shared_kernelILj8E21rocsparse_complex_numIfEEEviiiPKT0_S5_S5_PS3_, .Lfunc_end44-_ZN9rocsparseL49gtsv_nopivot_strided_batch_pcr_pow2_shared_kernelILj8E21rocsparse_complex_numIfEEEviiiPKT0_S5_S5_PS3_
                                        ; -- End function
	.set _ZN9rocsparseL49gtsv_nopivot_strided_batch_pcr_pow2_shared_kernelILj8E21rocsparse_complex_numIfEEEviiiPKT0_S5_S5_PS3_.num_vgpr, 49
	.set _ZN9rocsparseL49gtsv_nopivot_strided_batch_pcr_pow2_shared_kernelILj8E21rocsparse_complex_numIfEEEviiiPKT0_S5_S5_PS3_.num_agpr, 0
	.set _ZN9rocsparseL49gtsv_nopivot_strided_batch_pcr_pow2_shared_kernelILj8E21rocsparse_complex_numIfEEEviiiPKT0_S5_S5_PS3_.numbered_sgpr, 12
	.set _ZN9rocsparseL49gtsv_nopivot_strided_batch_pcr_pow2_shared_kernelILj8E21rocsparse_complex_numIfEEEviiiPKT0_S5_S5_PS3_.num_named_barrier, 0
	.set _ZN9rocsparseL49gtsv_nopivot_strided_batch_pcr_pow2_shared_kernelILj8E21rocsparse_complex_numIfEEEviiiPKT0_S5_S5_PS3_.private_seg_size, 0
	.set _ZN9rocsparseL49gtsv_nopivot_strided_batch_pcr_pow2_shared_kernelILj8E21rocsparse_complex_numIfEEEviiiPKT0_S5_S5_PS3_.uses_vcc, 1
	.set _ZN9rocsparseL49gtsv_nopivot_strided_batch_pcr_pow2_shared_kernelILj8E21rocsparse_complex_numIfEEEviiiPKT0_S5_S5_PS3_.uses_flat_scratch, 0
	.set _ZN9rocsparseL49gtsv_nopivot_strided_batch_pcr_pow2_shared_kernelILj8E21rocsparse_complex_numIfEEEviiiPKT0_S5_S5_PS3_.has_dyn_sized_stack, 0
	.set _ZN9rocsparseL49gtsv_nopivot_strided_batch_pcr_pow2_shared_kernelILj8E21rocsparse_complex_numIfEEEviiiPKT0_S5_S5_PS3_.has_recursion, 0
	.set _ZN9rocsparseL49gtsv_nopivot_strided_batch_pcr_pow2_shared_kernelILj8E21rocsparse_complex_numIfEEEviiiPKT0_S5_S5_PS3_.has_indirect_call, 0
	.section	.AMDGPU.csdata,"",@progbits
; Kernel info:
; codeLenInByte = 1712
; TotalNumSgprs: 18
; NumVgprs: 49
; NumAgprs: 0
; TotalNumVgprs: 49
; ScratchSize: 0
; MemoryBound: 0
; FloatMode: 240
; IeeeMode: 1
; LDSByteSize: 392 bytes/workgroup (compile time only)
; SGPRBlocks: 2
; VGPRBlocks: 6
; NumSGPRsForWavesPerEU: 18
; NumVGPRsForWavesPerEU: 49
; AccumOffset: 52
; Occupancy: 8
; WaveLimiterHint : 0
; COMPUTE_PGM_RSRC2:SCRATCH_EN: 0
; COMPUTE_PGM_RSRC2:USER_SGPR: 2
; COMPUTE_PGM_RSRC2:TRAP_HANDLER: 0
; COMPUTE_PGM_RSRC2:TGID_X_EN: 1
; COMPUTE_PGM_RSRC2:TGID_Y_EN: 0
; COMPUTE_PGM_RSRC2:TGID_Z_EN: 0
; COMPUTE_PGM_RSRC2:TIDIG_COMP_CNT: 0
; COMPUTE_PGM_RSRC3_GFX90A:ACCUM_OFFSET: 12
; COMPUTE_PGM_RSRC3_GFX90A:TG_SPLIT: 0
	.section	.text._ZN9rocsparseL49gtsv_nopivot_strided_batch_pcr_pow2_shared_kernelILj16E21rocsparse_complex_numIfEEEviiiPKT0_S5_S5_PS3_,"axG",@progbits,_ZN9rocsparseL49gtsv_nopivot_strided_batch_pcr_pow2_shared_kernelILj16E21rocsparse_complex_numIfEEEviiiPKT0_S5_S5_PS3_,comdat
	.globl	_ZN9rocsparseL49gtsv_nopivot_strided_batch_pcr_pow2_shared_kernelILj16E21rocsparse_complex_numIfEEEviiiPKT0_S5_S5_PS3_ ; -- Begin function _ZN9rocsparseL49gtsv_nopivot_strided_batch_pcr_pow2_shared_kernelILj16E21rocsparse_complex_numIfEEEviiiPKT0_S5_S5_PS3_
	.p2align	8
	.type	_ZN9rocsparseL49gtsv_nopivot_strided_batch_pcr_pow2_shared_kernelILj16E21rocsparse_complex_numIfEEEviiiPKT0_S5_S5_PS3_,@function
_ZN9rocsparseL49gtsv_nopivot_strided_batch_pcr_pow2_shared_kernelILj16E21rocsparse_complex_numIfEEEviiiPKT0_S5_S5_PS3_: ; @_ZN9rocsparseL49gtsv_nopivot_strided_batch_pcr_pow2_shared_kernelILj16E21rocsparse_complex_numIfEEEviiiPKT0_S5_S5_PS3_
; %bb.0:
	s_load_dword s3, s[0:1], 0x8
	s_load_dwordx8 s[4:11], s[0:1], 0x10
	v_min_u32_e32 v12, 14, v0
	v_sub_u32_e64 v13, v0, 1 clamp
	v_lshlrev_b32_e32 v1, 3, v0
	s_waitcnt lgkmcnt(0)
	s_mul_i32 s3, s3, s2
	v_add_u32_e32 v2, s3, v0
	v_ashrrev_i32_e32 v3, 31, v2
	v_lshlrev_b64 v[2:3], 3, v[2:3]
	v_lshl_add_u64 v[4:5], s[4:5], 0, v[2:3]
	v_lshl_add_u64 v[6:7], s[6:7], 0, v[2:3]
	global_load_dwordx2 v[8:9], v[4:5], off
	global_load_dwordx2 v[10:11], v[6:7], off
	v_lshl_add_u64 v[4:5], s[8:9], 0, v[2:3]
	v_lshl_add_u64 v[2:3], s[10:11], 0, v[2:3]
	global_load_dwordx2 v[4:5], v[4:5], off
	v_sub_u32_e64 v14, v0, 2 clamp
	global_load_dwordx2 v[6:7], v[2:3], off
	v_lshlrev_b32_e32 v20, 3, v13
	v_lshlrev_b32_e32 v24, 3, v12
	;; [unrolled: 1-line block ×3, first 2 shown]
	s_waitcnt vmcnt(2)
	ds_write2_b64 v1, v[8:9], v[10:11] offset1:18
	s_waitcnt vmcnt(0)
	ds_write2_b64 v1, v[4:5], v[6:7] offset0:36 offset1:72
	s_waitcnt lgkmcnt(0)
	; wave barrier
	ds_read2_b64 v[4:7], v1 offset1:18
	ds_read2_b64 v[8:11], v20 offset1:18
	ds_read2_b64 v[12:15], v1 offset0:36 offset1:72
	ds_read2_b64 v[16:19], v24 offset0:1 offset1:19
	;; [unrolled: 1-line block ×4, first 2 shown]
	s_waitcnt lgkmcnt(4)
	v_mul_f32_e32 v41, v11, v11
	v_fmac_f32_e32 v41, v10, v10
	s_waitcnt lgkmcnt(2)
	v_mul_f32_e32 v44, v19, v19
	v_mul_f32_e32 v45, v19, v13
	v_mul_f32_e32 v42, v11, v5
	v_mul_f32_e64 v43, v11, -v4
	v_mul_f32_e64 v19, v19, -v12
	v_pk_add_f32 v[28:29], v[8:9], 0 neg_lo:[1,1] neg_hi:[1,1]
	v_fmac_f32_e32 v44, v18, v18
	v_fmac_f32_e32 v45, v12, v18
	v_div_scale_f32 v12, s[0:1], v41, v41, 1.0
	v_fmac_f32_e32 v42, v4, v10
	v_fmac_f32_e32 v43, v5, v10
	;; [unrolled: 1-line block ×3, first 2 shown]
	v_pk_mov_b32 v[4:5], v[8:9], v[28:29] op_sel:[1,0]
	v_div_scale_f32 v18, s[0:1], v44, v44, 1.0
	v_rcp_f32_e32 v28, v12
	v_rcp_f32_e32 v29, v18
	s_waitcnt lgkmcnt(0)
	v_pk_add_f32 v[34:35], v[24:25], 0 neg_lo:[1,1] neg_hi:[1,1]
	v_div_scale_f32 v13, vcc, 1.0, v41, 1.0
	v_pk_mov_b32 v[10:11], v[24:25], v[34:35] op_sel:[1,0]
	v_fma_f32 v35, -v12, v28, 1.0
	v_fma_f32 v46, -v18, v29, 1.0
	v_fmac_f32_e32 v28, v35, v28
	v_div_scale_f32 v34, s[0:1], 1.0, v44, 1.0
	v_fmac_f32_e32 v29, v46, v29
	v_mul_f32_e32 v35, v13, v28
	v_mul_f32_e32 v46, v34, v29
	v_fma_f32 v47, -v12, v35, v13
	v_fma_f32 v48, -v18, v46, v34
	v_fmac_f32_e32 v35, v47, v28
	v_fmac_f32_e32 v46, v48, v29
	v_fma_f32 v12, -v12, v35, v13
	v_fma_f32 v13, -v18, v46, v34
	v_div_fmas_f32 v12, v12, v28, v35
	s_mov_b64 vcc, s[0:1]
	v_div_fixup_f32 v18, v12, v41, 1.0
	v_div_fmas_f32 v13, v13, v29, v46
	v_xor_b32_e32 v30, 0x80000000, v21
	v_mov_b32_e32 v31, v20
	v_xor_b32_e32 v36, 0x80000000, v23
	v_mov_b32_e32 v37, v22
	v_mul_f32_e32 v12, v18, v42
	v_mul_f32_e32 v18, v43, v18
	v_div_fixup_f32 v13, v13, v44, 1.0
	v_xor_b32_e32 v32, 0x80000000, v17
	v_mov_b32_e32 v33, v16
	v_xor_b32_e32 v38, 0x80000000, v27
	v_mov_b32_e32 v39, v26
	v_mul_f32_e32 v34, v19, v13
	v_pk_mul_f32 v[4:5], v[18:19], v[4:5] op_sel_hi:[0,1]
	v_pk_mul_f32 v[30:31], v[18:19], v[30:31] op_sel_hi:[0,1]
	;; [unrolled: 1-line block ×3, first 2 shown]
	v_mul_f32_e32 v28, v13, v45
	v_pk_fma_f32 v[4:5], v[8:9], v[12:13], v[4:5] op_sel_hi:[1,0,1] neg_lo:[1,0,0] neg_hi:[1,0,0]
	v_pk_fma_f32 v[8:9], v[20:21], v[12:13], v[30:31] op_sel_hi:[1,0,1]
	v_pk_mul_f32 v[20:21], v[34:35], v[32:33] op_sel_hi:[0,1]
	v_pk_fma_f32 v[12:13], v[22:23], v[12:13], v[18:19] op_sel_hi:[1,0,1]
	v_pk_mul_f32 v[18:19], v[34:35], v[38:39] op_sel_hi:[0,1]
	v_pk_mul_f32 v[10:11], v[34:35], v[10:11] op_sel_hi:[0,1]
	v_pk_add_f32 v[6:7], v[6:7], v[8:9] neg_lo:[0,1] neg_hi:[0,1]
	v_pk_fma_f32 v[8:9], v[16:17], v[28:29], v[20:21] op_sel_hi:[1,0,1]
	v_pk_add_f32 v[12:13], v[14:15], v[12:13] neg_lo:[0,1] neg_hi:[0,1]
	v_pk_fma_f32 v[14:15], v[26:27], v[28:29], v[18:19] op_sel_hi:[1,0,1]
	v_pk_fma_f32 v[10:11], v[24:25], v[28:29], v[10:11] op_sel_hi:[1,0,1] neg_lo:[1,0,0] neg_hi:[1,0,0]
	v_pk_add_f32 v[6:7], v[6:7], v[8:9] neg_lo:[0,1] neg_hi:[0,1]
	v_pk_add_f32 v[8:9], v[12:13], v[14:15] neg_lo:[0,1] neg_hi:[0,1]
	; wave barrier
	ds_write2_b64 v1, v[4:5], v[6:7] offset1:18
	ds_write2_b64 v1, v[10:11], v[8:9] offset0:36 offset1:72
	s_waitcnt lgkmcnt(0)
	; wave barrier
	ds_read2_b64 v[4:7], v40 offset1:18
	ds_read2_b64 v[8:11], v1 offset1:18
	v_min_u32_e32 v12, 13, v0
	v_lshlrev_b32_e32 v18, 3, v12
	ds_read2_b64 v[12:15], v18 offset0:2 offset1:20
	s_waitcnt lgkmcnt(2)
	v_mul_f32_e32 v16, v7, v7
	v_fmac_f32_e32 v16, v6, v6
	v_div_scale_f32 v19, s[0:1], v16, v16, 1.0
	v_rcp_f32_e32 v20, v19
	s_waitcnt lgkmcnt(1)
	v_mul_f32_e32 v17, v7, v9
	v_mul_f32_e64 v7, v7, -v8
	v_fmac_f32_e32 v17, v8, v6
	v_fma_f32 v21, -v19, v20, 1.0
	v_div_scale_f32 v8, vcc, 1.0, v16, 1.0
	v_fmac_f32_e32 v20, v21, v20
	v_mul_f32_e32 v21, v8, v20
	v_fma_f32 v22, -v19, v21, v8
	v_fmac_f32_e32 v21, v22, v20
	v_fma_f32 v8, -v19, v21, v8
	v_div_fmas_f32 v8, v8, v20, v21
	v_div_fixup_f32 v8, v8, v16, 1.0
	s_waitcnt lgkmcnt(0)
	v_mul_f32_e32 v16, v15, v15
	v_fmac_f32_e32 v16, v14, v14
	v_mul_f32_e32 v22, v8, v17
	v_div_scale_f32 v17, s[0:1], v16, v16, 1.0
	v_rcp_f32_e32 v19, v17
	v_fmac_f32_e32 v7, v9, v6
	v_mul_f32_e32 v24, v7, v8
	ds_read2_b64 v[6:9], v1 offset0:36 offset1:72
	v_fma_f32 v20, -v17, v19, 1.0
	v_fmac_f32_e32 v19, v20, v19
	v_div_scale_f32 v20, vcc, 1.0, v16, 1.0
	v_mul_f32_e32 v21, v20, v19
	v_fma_f32 v23, -v17, v21, v20
	v_fmac_f32_e32 v21, v23, v19
	v_fma_f32 v17, -v17, v21, v20
	v_div_fmas_f32 v17, v17, v19, v21
	v_div_fixup_f32 v16, v17, v16, 1.0
	s_waitcnt lgkmcnt(0)
	v_mul_f32_e32 v17, v15, v7
	v_fmac_f32_e32 v17, v6, v14
	v_mul_f32_e64 v6, v15, -v6
	v_fmac_f32_e32 v6, v7, v14
	v_mul_f32_e32 v26, v16, v17
	v_mul_f32_e32 v6, v6, v16
	ds_read2_b64 v[14:17], v40 offset0:36 offset1:72
	ds_read2_b64 v[18:21], v18 offset0:38 offset1:74
	v_pk_add_f32 v[28:29], v[4:5], 0 neg_lo:[1,1] neg_hi:[1,1]
	s_waitcnt lgkmcnt(0)
	v_pk_mov_b32 v[28:29], v[4:5], v[28:29] op_sel:[1,0]
	; wave barrier
	s_nop 0
	v_pk_mul_f32 v[28:29], v[24:25], v[28:29] op_sel_hi:[0,1]
	v_pk_fma_f32 v[4:5], v[4:5], v[22:23], v[28:29] op_sel_hi:[1,0,1] neg_lo:[1,0,0] neg_hi:[1,0,0]
	v_xor_b32_e32 v28, 0x80000000, v15
	v_mov_b32_e32 v29, v14
	v_pk_mul_f32 v[28:29], v[24:25], v[28:29] op_sel_hi:[0,1]
	v_pk_fma_f32 v[14:15], v[14:15], v[22:23], v[28:29] op_sel_hi:[1,0,1]
	s_nop 0
	v_pk_add_f32 v[10:11], v[10:11], v[14:15] neg_lo:[0,1] neg_hi:[0,1]
	v_xor_b32_e32 v14, 0x80000000, v13
	v_mov_b32_e32 v15, v12
	v_pk_mul_f32 v[14:15], v[6:7], v[14:15] op_sel_hi:[0,1]
	v_pk_fma_f32 v[12:13], v[12:13], v[26:27], v[14:15] op_sel_hi:[1,0,1]
	v_xor_b32_e32 v14, 0x80000000, v17
	v_mov_b32_e32 v15, v16
	v_pk_mul_f32 v[14:15], v[24:25], v[14:15] op_sel_hi:[0,1]
	v_pk_add_f32 v[10:11], v[10:11], v[12:13] neg_lo:[0,1] neg_hi:[0,1]
	v_pk_add_f32 v[12:13], v[18:19], 0 neg_lo:[1,1] neg_hi:[1,1]
	v_pk_fma_f32 v[14:15], v[16:17], v[22:23], v[14:15] op_sel_hi:[1,0,1]
	v_pk_mov_b32 v[12:13], v[18:19], v[12:13] op_sel:[1,0]
	v_pk_add_f32 v[8:9], v[8:9], v[14:15] neg_lo:[0,1] neg_hi:[0,1]
	v_xor_b32_e32 v14, 0x80000000, v21
	v_mov_b32_e32 v15, v20
	v_pk_mul_f32 v[12:13], v[6:7], v[12:13] op_sel_hi:[0,1]
	v_pk_mul_f32 v[6:7], v[6:7], v[14:15] op_sel_hi:[0,1]
	v_pk_fma_f32 v[6:7], v[20:21], v[26:27], v[6:7] op_sel_hi:[1,0,1]
	v_pk_fma_f32 v[12:13], v[18:19], v[26:27], v[12:13] op_sel_hi:[1,0,1] neg_lo:[1,0,0] neg_hi:[1,0,0]
	v_pk_add_f32 v[6:7], v[8:9], v[6:7] neg_lo:[0,1] neg_hi:[0,1]
	ds_write2_b64 v1, v[4:5], v[10:11] offset1:18
	ds_write2_b64 v1, v[12:13], v[6:7] offset0:36 offset1:72
	v_sub_u32_e64 v4, v0, 4 clamp
	v_lshlrev_b32_e32 v16, 3, v4
	s_waitcnt lgkmcnt(0)
	; wave barrier
	ds_read2_b64 v[4:7], v16 offset1:18
	v_min_u32_e32 v15, 11, v0
	ds_read2_b64 v[8:11], v1 offset1:18
	s_waitcnt lgkmcnt(1)
	v_mul_f32_e32 v12, v7, v7
	v_fmac_f32_e32 v12, v6, v6
	v_div_scale_f32 v13, s[0:1], v12, v12, 1.0
	v_rcp_f32_e32 v14, v13
	v_pk_add_f32 v[28:29], v[4:5], 0 neg_lo:[1,1] neg_hi:[1,1]
	v_fma_f32 v17, -v13, v14, 1.0
	v_fmac_f32_e32 v14, v17, v14
	v_div_scale_f32 v17, vcc, 1.0, v12, 1.0
	v_mul_f32_e32 v18, v17, v14
	v_fma_f32 v19, -v13, v18, v17
	v_fmac_f32_e32 v18, v19, v14
	v_fma_f32 v13, -v13, v18, v17
	v_div_fmas_f32 v13, v13, v14, v18
	v_lshlrev_b32_e32 v18, 3, v15
	v_div_fixup_f32 v17, v13, v12, 1.0
	ds_read2_b64 v[12:15], v18 offset0:4 offset1:22
	s_waitcnt lgkmcnt(1)
	v_mul_f32_e32 v19, v7, v9
	v_fmac_f32_e32 v19, v8, v6
	v_mul_f32_e32 v22, v17, v19
	v_mul_f32_e64 v7, v7, -v8
	s_waitcnt lgkmcnt(0)
	v_mul_f32_e32 v19, v15, v15
	v_fmac_f32_e32 v19, v14, v14
	v_div_scale_f32 v20, s[0:1], v19, v19, 1.0
	v_rcp_f32_e32 v21, v20
	v_fmac_f32_e32 v7, v9, v6
	v_mul_f32_e32 v24, v7, v17
	ds_read2_b64 v[6:9], v1 offset0:36 offset1:72
	v_fma_f32 v17, -v20, v21, 1.0
	v_fmac_f32_e32 v21, v17, v21
	v_div_scale_f32 v17, vcc, 1.0, v19, 1.0
	v_mul_f32_e32 v23, v17, v21
	v_fma_f32 v25, -v20, v23, v17
	v_fmac_f32_e32 v23, v25, v21
	v_fma_f32 v17, -v20, v23, v17
	v_div_fmas_f32 v17, v17, v21, v23
	v_div_fixup_f32 v17, v17, v19, 1.0
	s_waitcnt lgkmcnt(0)
	v_mul_f32_e32 v19, v15, v7
	v_fmac_f32_e32 v19, v6, v14
	v_mul_f32_e64 v6, v15, -v6
	v_fmac_f32_e32 v6, v7, v14
	v_mul_f32_e32 v26, v17, v19
	v_mul_f32_e32 v6, v6, v17
	ds_read2_b64 v[14:17], v16 offset0:36 offset1:72
	ds_read2_b64 v[18:21], v18 offset0:40 offset1:76
	v_pk_mov_b32 v[28:29], v[4:5], v[28:29] op_sel:[1,0]
	v_cmp_gt_u32_e32 vcc, 8, v0
	v_pk_mul_f32 v[28:29], v[24:25], v[28:29] op_sel_hi:[0,1]
	v_pk_fma_f32 v[4:5], v[4:5], v[22:23], v[28:29] op_sel_hi:[1,0,1] neg_lo:[1,0,0] neg_hi:[1,0,0]
	s_waitcnt lgkmcnt(1)
	v_xor_b32_e32 v28, 0x80000000, v15
	v_mov_b32_e32 v29, v14
	v_pk_mul_f32 v[28:29], v[24:25], v[28:29] op_sel_hi:[0,1]
	v_pk_fma_f32 v[14:15], v[14:15], v[22:23], v[28:29] op_sel_hi:[1,0,1]
	s_waitcnt lgkmcnt(0)
	v_pk_add_f32 v[10:11], v[10:11], v[14:15] neg_lo:[0,1] neg_hi:[0,1]
	v_xor_b32_e32 v14, 0x80000000, v13
	v_mov_b32_e32 v15, v12
	v_pk_mul_f32 v[14:15], v[6:7], v[14:15] op_sel_hi:[0,1]
	v_pk_fma_f32 v[12:13], v[12:13], v[26:27], v[14:15] op_sel_hi:[1,0,1]
	v_xor_b32_e32 v14, 0x80000000, v17
	v_mov_b32_e32 v15, v16
	v_pk_mul_f32 v[14:15], v[24:25], v[14:15] op_sel_hi:[0,1]
	v_pk_add_f32 v[10:11], v[10:11], v[12:13] neg_lo:[0,1] neg_hi:[0,1]
	v_pk_add_f32 v[12:13], v[18:19], 0 neg_lo:[1,1] neg_hi:[1,1]
	v_pk_fma_f32 v[14:15], v[16:17], v[22:23], v[14:15] op_sel_hi:[1,0,1]
	v_pk_mov_b32 v[12:13], v[18:19], v[12:13] op_sel:[1,0]
	v_pk_add_f32 v[8:9], v[8:9], v[14:15] neg_lo:[0,1] neg_hi:[0,1]
	v_xor_b32_e32 v14, 0x80000000, v21
	v_mov_b32_e32 v15, v20
	v_pk_mul_f32 v[12:13], v[6:7], v[12:13] op_sel_hi:[0,1]
	v_pk_mul_f32 v[6:7], v[6:7], v[14:15] op_sel_hi:[0,1]
	v_pk_fma_f32 v[6:7], v[20:21], v[26:27], v[6:7] op_sel_hi:[1,0,1]
	v_pk_fma_f32 v[12:13], v[18:19], v[26:27], v[12:13] op_sel_hi:[1,0,1] neg_lo:[1,0,0] neg_hi:[1,0,0]
	; wave barrier
	v_pk_add_f32 v[6:7], v[8:9], v[6:7] neg_lo:[0,1] neg_hi:[0,1]
	ds_write2_b64 v1, v[4:5], v[10:11] offset1:18
	ds_write2_b64 v1, v[12:13], v[6:7] offset0:36 offset1:72
	s_waitcnt lgkmcnt(0)
	; wave barrier
	s_and_saveexec_b64 s[0:1], vcc
	s_cbranch_execz .LBB45_2
; %bb.1:
	v_add_u32_e32 v0, 0x90, v1
	v_add_u32_e32 v8, 0x120, v1
	;; [unrolled: 1-line block ×3, first 2 shown]
	ds_read2_b64 v[4:7], v0 offset1:8
	ds_read_b64 v[8:9], v8
	ds_read_b32 v0, v23
	ds_read_b64 v[10:11], v23
	ds_read_b64 v[12:13], v1 offset:64
	s_waitcnt lgkmcnt(4)
	v_xor_b32_e32 v14, 0x80000000, v7
	s_waitcnt lgkmcnt(3)
	v_xor_b32_e32 v16, 0x80000000, v9
	v_mov_b32_e32 v15, v6
	v_mov_b32_e32 v17, v8
	v_pk_mul_f32 v[18:19], v[4:5], v[14:15] op_sel:[1,0]
	s_waitcnt lgkmcnt(0)
	v_pk_mul_f32 v[20:21], v[12:13], v[16:17] op_sel:[1,0]
	v_pk_fma_f32 v[18:19], v[6:7], v[4:5], v[18:19] op_sel_hi:[1,0,1]
	v_pk_fma_f32 v[20:21], v[8:9], v[12:13], v[20:21] op_sel_hi:[1,0,1]
	s_nop 0
	v_pk_add_f32 v[18:19], v[18:19], v[20:21] neg_lo:[0,1] neg_hi:[0,1]
	ds_read2_b32 v[20:21], v23 offset0:1 offset1:16
	ds_read_b32 v22, v23 offset:68
	v_mul_f32_e32 v24, v19, v19
	v_fmac_f32_e32 v24, v18, v18
	v_div_scale_f32 v25, s[2:3], v24, v24, 1.0
	v_rcp_f32_e32 v26, v25
	s_waitcnt lgkmcnt(1)
	v_pk_mul_f32 v[14:15], v[20:21], v[14:15] op_sel_hi:[0,1]
	v_pk_fma_f32 v[6:7], v[6:7], v[0:1], v[14:15] op_sel_hi:[1,0,1]
	ds_read_b64 v[14:15], v23 offset:64
	v_fma_f32 v27, -v25, v26, 1.0
	v_fmac_f32_e32 v26, v27, v26
	v_div_scale_f32 v27, vcc, 1.0, v24, 1.0
	v_mul_f32_e32 v28, v27, v26
	v_fma_f32 v29, -v25, v28, v27
	v_fmac_f32_e32 v28, v29, v26
	v_fma_f32 v25, -v25, v28, v27
	s_waitcnt lgkmcnt(1)
	v_pk_mul_f32 v[16:17], v[22:23], v[16:17] op_sel_hi:[0,1]
	v_mov_b32_e32 v0, v21
	v_div_fmas_f32 v25, v25, v26, v28
	v_pk_fma_f32 v[8:9], v[8:9], v[0:1], v[16:17] op_sel_hi:[1,0,1]
	v_div_fixup_f32 v25, v25, v24, 1.0
	v_fma_f32 v24, 0, v19, v18
	v_fma_f32 v18, v18, 0, -v19
	v_pk_add_f32 v[6:7], v[6:7], v[8:9] neg_lo:[0,1] neg_hi:[0,1]
	v_mul_f32_e32 v18, v18, v25
	v_xor_b32_e32 v8, 0x80000000, v7
	v_mov_b32_e32 v9, v6
	v_mul_f32_e32 v24, v24, v25
	v_pk_mul_f32 v[8:9], v[18:19], v[8:9] op_sel_hi:[0,1]
	v_pk_fma_f32 v[6:7], v[6:7], v[24:25], v[8:9] op_sel_hi:[1,0,1]
	s_waitcnt lgkmcnt(0)
	v_xor_b32_e32 v8, 0x80000000, v15
	v_mov_b32_e32 v9, v14
	v_pk_mul_f32 v[8:9], v[4:5], v[8:9] op_sel:[1,0]
	s_nop 0
	v_pk_fma_f32 v[4:5], v[14:15], v[4:5], v[8:9] op_sel_hi:[1,0,1]
	v_xor_b32_e32 v8, 0x80000000, v11
	v_mov_b32_e32 v9, v10
	v_pk_mul_f32 v[8:9], v[12:13], v[8:9] op_sel:[1,0]
	s_nop 0
	v_pk_fma_f32 v[8:9], v[10:11], v[12:13], v[8:9] op_sel_hi:[1,0,1]
	s_nop 0
	v_pk_add_f32 v[4:5], v[4:5], v[8:9] neg_lo:[0,1] neg_hi:[0,1]
	s_nop 0
	v_xor_b32_e32 v8, 0x80000000, v5
	v_mov_b32_e32 v9, v4
	v_pk_mul_f32 v[8:9], v[18:19], v[8:9] op_sel_hi:[0,1]
	v_pk_fma_f32 v[4:5], v[4:5], v[24:25], v[8:9] op_sel_hi:[1,0,1]
	ds_write2_b64 v1, v[6:7], v[4:5] offset0:54 offset1:62
.LBB45_2:
	s_or_b64 exec, exec, s[0:1]
	s_waitcnt lgkmcnt(0)
	; wave barrier
	ds_read_b64 v[0:1], v1 offset:432
	s_waitcnt lgkmcnt(0)
	global_store_dwordx2 v[2:3], v[0:1], off
	s_endpgm
	.section	.rodata,"a",@progbits
	.p2align	6, 0x0
	.amdhsa_kernel _ZN9rocsparseL49gtsv_nopivot_strided_batch_pcr_pow2_shared_kernelILj16E21rocsparse_complex_numIfEEEviiiPKT0_S5_S5_PS3_
		.amdhsa_group_segment_fixed_size 712
		.amdhsa_private_segment_fixed_size 0
		.amdhsa_kernarg_size 48
		.amdhsa_user_sgpr_count 2
		.amdhsa_user_sgpr_dispatch_ptr 0
		.amdhsa_user_sgpr_queue_ptr 0
		.amdhsa_user_sgpr_kernarg_segment_ptr 1
		.amdhsa_user_sgpr_dispatch_id 0
		.amdhsa_user_sgpr_kernarg_preload_length 0
		.amdhsa_user_sgpr_kernarg_preload_offset 0
		.amdhsa_user_sgpr_private_segment_size 0
		.amdhsa_uses_dynamic_stack 0
		.amdhsa_enable_private_segment 0
		.amdhsa_system_sgpr_workgroup_id_x 1
		.amdhsa_system_sgpr_workgroup_id_y 0
		.amdhsa_system_sgpr_workgroup_id_z 0
		.amdhsa_system_sgpr_workgroup_info 0
		.amdhsa_system_vgpr_workitem_id 0
		.amdhsa_next_free_vgpr 49
		.amdhsa_next_free_sgpr 12
		.amdhsa_accum_offset 52
		.amdhsa_reserve_vcc 1
		.amdhsa_float_round_mode_32 0
		.amdhsa_float_round_mode_16_64 0
		.amdhsa_float_denorm_mode_32 3
		.amdhsa_float_denorm_mode_16_64 3
		.amdhsa_dx10_clamp 1
		.amdhsa_ieee_mode 1
		.amdhsa_fp16_overflow 0
		.amdhsa_tg_split 0
		.amdhsa_exception_fp_ieee_invalid_op 0
		.amdhsa_exception_fp_denorm_src 0
		.amdhsa_exception_fp_ieee_div_zero 0
		.amdhsa_exception_fp_ieee_overflow 0
		.amdhsa_exception_fp_ieee_underflow 0
		.amdhsa_exception_fp_ieee_inexact 0
		.amdhsa_exception_int_div_zero 0
	.end_amdhsa_kernel
	.section	.text._ZN9rocsparseL49gtsv_nopivot_strided_batch_pcr_pow2_shared_kernelILj16E21rocsparse_complex_numIfEEEviiiPKT0_S5_S5_PS3_,"axG",@progbits,_ZN9rocsparseL49gtsv_nopivot_strided_batch_pcr_pow2_shared_kernelILj16E21rocsparse_complex_numIfEEEviiiPKT0_S5_S5_PS3_,comdat
.Lfunc_end45:
	.size	_ZN9rocsparseL49gtsv_nopivot_strided_batch_pcr_pow2_shared_kernelILj16E21rocsparse_complex_numIfEEEviiiPKT0_S5_S5_PS3_, .Lfunc_end45-_ZN9rocsparseL49gtsv_nopivot_strided_batch_pcr_pow2_shared_kernelILj16E21rocsparse_complex_numIfEEEviiiPKT0_S5_S5_PS3_
                                        ; -- End function
	.set _ZN9rocsparseL49gtsv_nopivot_strided_batch_pcr_pow2_shared_kernelILj16E21rocsparse_complex_numIfEEEviiiPKT0_S5_S5_PS3_.num_vgpr, 49
	.set _ZN9rocsparseL49gtsv_nopivot_strided_batch_pcr_pow2_shared_kernelILj16E21rocsparse_complex_numIfEEEviiiPKT0_S5_S5_PS3_.num_agpr, 0
	.set _ZN9rocsparseL49gtsv_nopivot_strided_batch_pcr_pow2_shared_kernelILj16E21rocsparse_complex_numIfEEEviiiPKT0_S5_S5_PS3_.numbered_sgpr, 12
	.set _ZN9rocsparseL49gtsv_nopivot_strided_batch_pcr_pow2_shared_kernelILj16E21rocsparse_complex_numIfEEEviiiPKT0_S5_S5_PS3_.num_named_barrier, 0
	.set _ZN9rocsparseL49gtsv_nopivot_strided_batch_pcr_pow2_shared_kernelILj16E21rocsparse_complex_numIfEEEviiiPKT0_S5_S5_PS3_.private_seg_size, 0
	.set _ZN9rocsparseL49gtsv_nopivot_strided_batch_pcr_pow2_shared_kernelILj16E21rocsparse_complex_numIfEEEviiiPKT0_S5_S5_PS3_.uses_vcc, 1
	.set _ZN9rocsparseL49gtsv_nopivot_strided_batch_pcr_pow2_shared_kernelILj16E21rocsparse_complex_numIfEEEviiiPKT0_S5_S5_PS3_.uses_flat_scratch, 0
	.set _ZN9rocsparseL49gtsv_nopivot_strided_batch_pcr_pow2_shared_kernelILj16E21rocsparse_complex_numIfEEEviiiPKT0_S5_S5_PS3_.has_dyn_sized_stack, 0
	.set _ZN9rocsparseL49gtsv_nopivot_strided_batch_pcr_pow2_shared_kernelILj16E21rocsparse_complex_numIfEEEviiiPKT0_S5_S5_PS3_.has_recursion, 0
	.set _ZN9rocsparseL49gtsv_nopivot_strided_batch_pcr_pow2_shared_kernelILj16E21rocsparse_complex_numIfEEEviiiPKT0_S5_S5_PS3_.has_indirect_call, 0
	.section	.AMDGPU.csdata,"",@progbits
; Kernel info:
; codeLenInByte = 2256
; TotalNumSgprs: 18
; NumVgprs: 49
; NumAgprs: 0
; TotalNumVgprs: 49
; ScratchSize: 0
; MemoryBound: 0
; FloatMode: 240
; IeeeMode: 1
; LDSByteSize: 712 bytes/workgroup (compile time only)
; SGPRBlocks: 2
; VGPRBlocks: 6
; NumSGPRsForWavesPerEU: 18
; NumVGPRsForWavesPerEU: 49
; AccumOffset: 52
; Occupancy: 8
; WaveLimiterHint : 0
; COMPUTE_PGM_RSRC2:SCRATCH_EN: 0
; COMPUTE_PGM_RSRC2:USER_SGPR: 2
; COMPUTE_PGM_RSRC2:TRAP_HANDLER: 0
; COMPUTE_PGM_RSRC2:TGID_X_EN: 1
; COMPUTE_PGM_RSRC2:TGID_Y_EN: 0
; COMPUTE_PGM_RSRC2:TGID_Z_EN: 0
; COMPUTE_PGM_RSRC2:TIDIG_COMP_CNT: 0
; COMPUTE_PGM_RSRC3_GFX90A:ACCUM_OFFSET: 12
; COMPUTE_PGM_RSRC3_GFX90A:TG_SPLIT: 0
	.section	.text._ZN9rocsparseL49gtsv_nopivot_strided_batch_pcr_pow2_shared_kernelILj32E21rocsparse_complex_numIfEEEviiiPKT0_S5_S5_PS3_,"axG",@progbits,_ZN9rocsparseL49gtsv_nopivot_strided_batch_pcr_pow2_shared_kernelILj32E21rocsparse_complex_numIfEEEviiiPKT0_S5_S5_PS3_,comdat
	.globl	_ZN9rocsparseL49gtsv_nopivot_strided_batch_pcr_pow2_shared_kernelILj32E21rocsparse_complex_numIfEEEviiiPKT0_S5_S5_PS3_ ; -- Begin function _ZN9rocsparseL49gtsv_nopivot_strided_batch_pcr_pow2_shared_kernelILj32E21rocsparse_complex_numIfEEEviiiPKT0_S5_S5_PS3_
	.p2align	8
	.type	_ZN9rocsparseL49gtsv_nopivot_strided_batch_pcr_pow2_shared_kernelILj32E21rocsparse_complex_numIfEEEviiiPKT0_S5_S5_PS3_,@function
_ZN9rocsparseL49gtsv_nopivot_strided_batch_pcr_pow2_shared_kernelILj32E21rocsparse_complex_numIfEEEviiiPKT0_S5_S5_PS3_: ; @_ZN9rocsparseL49gtsv_nopivot_strided_batch_pcr_pow2_shared_kernelILj32E21rocsparse_complex_numIfEEEviiiPKT0_S5_S5_PS3_
; %bb.0:
	s_load_dword s3, s[0:1], 0x8
	s_load_dwordx8 s[4:11], s[0:1], 0x10
	v_min_u32_e32 v12, 30, v0
	v_sub_u32_e64 v13, v0, 1 clamp
	v_lshlrev_b32_e32 v1, 3, v0
	s_waitcnt lgkmcnt(0)
	s_mul_i32 s3, s3, s2
	v_add_u32_e32 v2, s3, v0
	v_ashrrev_i32_e32 v3, 31, v2
	v_lshlrev_b64 v[2:3], 3, v[2:3]
	v_lshl_add_u64 v[4:5], s[4:5], 0, v[2:3]
	v_lshl_add_u64 v[6:7], s[6:7], 0, v[2:3]
	global_load_dwordx2 v[8:9], v[4:5], off
	global_load_dwordx2 v[10:11], v[6:7], off
	v_lshl_add_u64 v[4:5], s[8:9], 0, v[2:3]
	v_lshl_add_u64 v[2:3], s[10:11], 0, v[2:3]
	global_load_dwordx2 v[4:5], v[4:5], off
	v_sub_u32_e64 v14, v0, 2 clamp
	global_load_dwordx2 v[6:7], v[2:3], off
	v_lshlrev_b32_e32 v20, 3, v13
	v_lshlrev_b32_e32 v24, 3, v12
	v_lshlrev_b32_e32 v40, 3, v14
	s_waitcnt vmcnt(2)
	ds_write2_b64 v1, v[8:9], v[10:11] offset1:34
	s_waitcnt vmcnt(0)
	ds_write2_b64 v1, v[4:5], v[6:7] offset0:68 offset1:136
	s_waitcnt lgkmcnt(0)
	; wave barrier
	ds_read2_b64 v[4:7], v1 offset1:34
	ds_read2_b64 v[8:11], v20 offset1:34
	ds_read2_b64 v[12:15], v1 offset0:68 offset1:136
	ds_read2_b64 v[16:19], v24 offset0:1 offset1:35
	;; [unrolled: 1-line block ×4, first 2 shown]
	s_waitcnt lgkmcnt(4)
	v_mul_f32_e32 v41, v11, v11
	v_fmac_f32_e32 v41, v10, v10
	s_waitcnt lgkmcnt(2)
	v_mul_f32_e32 v44, v19, v19
	v_mul_f32_e32 v45, v19, v13
	;; [unrolled: 1-line block ×3, first 2 shown]
	v_mul_f32_e64 v43, v11, -v4
	v_mul_f32_e64 v19, v19, -v12
	v_pk_add_f32 v[28:29], v[8:9], 0 neg_lo:[1,1] neg_hi:[1,1]
	v_fmac_f32_e32 v44, v18, v18
	v_fmac_f32_e32 v45, v12, v18
	v_div_scale_f32 v12, s[0:1], v41, v41, 1.0
	v_fmac_f32_e32 v42, v4, v10
	v_fmac_f32_e32 v43, v5, v10
	;; [unrolled: 1-line block ×3, first 2 shown]
	v_pk_mov_b32 v[4:5], v[8:9], v[28:29] op_sel:[1,0]
	v_div_scale_f32 v18, s[0:1], v44, v44, 1.0
	v_rcp_f32_e32 v28, v12
	v_rcp_f32_e32 v29, v18
	s_waitcnt lgkmcnt(0)
	v_pk_add_f32 v[34:35], v[24:25], 0 neg_lo:[1,1] neg_hi:[1,1]
	v_div_scale_f32 v13, vcc, 1.0, v41, 1.0
	v_pk_mov_b32 v[10:11], v[24:25], v[34:35] op_sel:[1,0]
	v_fma_f32 v35, -v12, v28, 1.0
	v_fma_f32 v46, -v18, v29, 1.0
	v_fmac_f32_e32 v28, v35, v28
	v_div_scale_f32 v34, s[0:1], 1.0, v44, 1.0
	v_fmac_f32_e32 v29, v46, v29
	v_mul_f32_e32 v35, v13, v28
	v_mul_f32_e32 v46, v34, v29
	v_fma_f32 v47, -v12, v35, v13
	v_fma_f32 v48, -v18, v46, v34
	v_fmac_f32_e32 v35, v47, v28
	v_fmac_f32_e32 v46, v48, v29
	v_fma_f32 v12, -v12, v35, v13
	v_fma_f32 v13, -v18, v46, v34
	v_div_fmas_f32 v12, v12, v28, v35
	s_mov_b64 vcc, s[0:1]
	v_div_fixup_f32 v18, v12, v41, 1.0
	v_div_fmas_f32 v13, v13, v29, v46
	v_xor_b32_e32 v30, 0x80000000, v21
	v_mov_b32_e32 v31, v20
	v_xor_b32_e32 v36, 0x80000000, v23
	v_mov_b32_e32 v37, v22
	v_mul_f32_e32 v12, v18, v42
	v_mul_f32_e32 v18, v43, v18
	v_div_fixup_f32 v13, v13, v44, 1.0
	v_xor_b32_e32 v32, 0x80000000, v17
	v_mov_b32_e32 v33, v16
	v_xor_b32_e32 v38, 0x80000000, v27
	v_mov_b32_e32 v39, v26
	v_mul_f32_e32 v34, v19, v13
	v_pk_mul_f32 v[4:5], v[18:19], v[4:5] op_sel_hi:[0,1]
	v_pk_mul_f32 v[30:31], v[18:19], v[30:31] op_sel_hi:[0,1]
	;; [unrolled: 1-line block ×3, first 2 shown]
	v_mul_f32_e32 v28, v13, v45
	v_pk_fma_f32 v[4:5], v[8:9], v[12:13], v[4:5] op_sel_hi:[1,0,1] neg_lo:[1,0,0] neg_hi:[1,0,0]
	v_pk_fma_f32 v[8:9], v[20:21], v[12:13], v[30:31] op_sel_hi:[1,0,1]
	v_pk_mul_f32 v[20:21], v[34:35], v[32:33] op_sel_hi:[0,1]
	v_pk_fma_f32 v[12:13], v[22:23], v[12:13], v[18:19] op_sel_hi:[1,0,1]
	v_pk_mul_f32 v[18:19], v[34:35], v[38:39] op_sel_hi:[0,1]
	v_pk_mul_f32 v[10:11], v[34:35], v[10:11] op_sel_hi:[0,1]
	v_pk_add_f32 v[6:7], v[6:7], v[8:9] neg_lo:[0,1] neg_hi:[0,1]
	v_pk_fma_f32 v[8:9], v[16:17], v[28:29], v[20:21] op_sel_hi:[1,0,1]
	v_pk_add_f32 v[12:13], v[14:15], v[12:13] neg_lo:[0,1] neg_hi:[0,1]
	v_pk_fma_f32 v[14:15], v[26:27], v[28:29], v[18:19] op_sel_hi:[1,0,1]
	v_pk_fma_f32 v[10:11], v[24:25], v[28:29], v[10:11] op_sel_hi:[1,0,1] neg_lo:[1,0,0] neg_hi:[1,0,0]
	v_pk_add_f32 v[6:7], v[6:7], v[8:9] neg_lo:[0,1] neg_hi:[0,1]
	v_pk_add_f32 v[8:9], v[12:13], v[14:15] neg_lo:[0,1] neg_hi:[0,1]
	; wave barrier
	ds_write2_b64 v1, v[4:5], v[6:7] offset1:34
	ds_write2_b64 v1, v[10:11], v[8:9] offset0:68 offset1:136
	s_waitcnt lgkmcnt(0)
	; wave barrier
	ds_read2_b64 v[4:7], v40 offset1:34
	ds_read2_b64 v[8:11], v1 offset1:34
	v_min_u32_e32 v12, 29, v0
	v_lshlrev_b32_e32 v18, 3, v12
	ds_read2_b64 v[12:15], v18 offset0:2 offset1:36
	s_waitcnt lgkmcnt(2)
	v_mul_f32_e32 v16, v7, v7
	v_fmac_f32_e32 v16, v6, v6
	v_div_scale_f32 v19, s[0:1], v16, v16, 1.0
	v_rcp_f32_e32 v20, v19
	s_waitcnt lgkmcnt(1)
	v_mul_f32_e32 v17, v7, v9
	v_mul_f32_e64 v7, v7, -v8
	v_fmac_f32_e32 v17, v8, v6
	v_fma_f32 v21, -v19, v20, 1.0
	v_div_scale_f32 v8, vcc, 1.0, v16, 1.0
	v_fmac_f32_e32 v20, v21, v20
	v_mul_f32_e32 v21, v8, v20
	v_fma_f32 v22, -v19, v21, v8
	v_fmac_f32_e32 v21, v22, v20
	v_fma_f32 v8, -v19, v21, v8
	v_div_fmas_f32 v8, v8, v20, v21
	v_div_fixup_f32 v8, v8, v16, 1.0
	s_waitcnt lgkmcnt(0)
	v_mul_f32_e32 v16, v15, v15
	v_fmac_f32_e32 v16, v14, v14
	v_mul_f32_e32 v22, v8, v17
	v_div_scale_f32 v17, s[0:1], v16, v16, 1.0
	v_rcp_f32_e32 v19, v17
	v_fmac_f32_e32 v7, v9, v6
	v_mul_f32_e32 v24, v7, v8
	ds_read2_b64 v[6:9], v1 offset0:68 offset1:136
	v_fma_f32 v20, -v17, v19, 1.0
	v_fmac_f32_e32 v19, v20, v19
	v_div_scale_f32 v20, vcc, 1.0, v16, 1.0
	v_mul_f32_e32 v21, v20, v19
	v_fma_f32 v23, -v17, v21, v20
	v_fmac_f32_e32 v21, v23, v19
	v_fma_f32 v17, -v17, v21, v20
	v_div_fmas_f32 v17, v17, v19, v21
	v_div_fixup_f32 v16, v17, v16, 1.0
	s_waitcnt lgkmcnt(0)
	v_mul_f32_e32 v17, v15, v7
	v_fmac_f32_e32 v17, v6, v14
	v_mul_f32_e64 v6, v15, -v6
	v_fmac_f32_e32 v6, v7, v14
	v_mul_f32_e32 v26, v16, v17
	v_mul_f32_e32 v6, v6, v16
	ds_read2_b64 v[14:17], v40 offset0:68 offset1:136
	ds_read2_b64 v[18:21], v18 offset0:70 offset1:138
	v_pk_add_f32 v[28:29], v[4:5], 0 neg_lo:[1,1] neg_hi:[1,1]
	s_waitcnt lgkmcnt(0)
	v_pk_mov_b32 v[28:29], v[4:5], v[28:29] op_sel:[1,0]
	; wave barrier
	s_nop 0
	v_pk_mul_f32 v[28:29], v[24:25], v[28:29] op_sel_hi:[0,1]
	v_pk_fma_f32 v[4:5], v[4:5], v[22:23], v[28:29] op_sel_hi:[1,0,1] neg_lo:[1,0,0] neg_hi:[1,0,0]
	v_xor_b32_e32 v28, 0x80000000, v15
	v_mov_b32_e32 v29, v14
	v_pk_mul_f32 v[28:29], v[24:25], v[28:29] op_sel_hi:[0,1]
	v_pk_fma_f32 v[14:15], v[14:15], v[22:23], v[28:29] op_sel_hi:[1,0,1]
	s_nop 0
	v_pk_add_f32 v[10:11], v[10:11], v[14:15] neg_lo:[0,1] neg_hi:[0,1]
	v_xor_b32_e32 v14, 0x80000000, v13
	v_mov_b32_e32 v15, v12
	v_pk_mul_f32 v[14:15], v[6:7], v[14:15] op_sel_hi:[0,1]
	v_pk_fma_f32 v[12:13], v[12:13], v[26:27], v[14:15] op_sel_hi:[1,0,1]
	v_xor_b32_e32 v14, 0x80000000, v17
	v_mov_b32_e32 v15, v16
	v_pk_mul_f32 v[14:15], v[24:25], v[14:15] op_sel_hi:[0,1]
	v_pk_add_f32 v[10:11], v[10:11], v[12:13] neg_lo:[0,1] neg_hi:[0,1]
	v_pk_add_f32 v[12:13], v[18:19], 0 neg_lo:[1,1] neg_hi:[1,1]
	v_pk_fma_f32 v[14:15], v[16:17], v[22:23], v[14:15] op_sel_hi:[1,0,1]
	v_pk_mov_b32 v[12:13], v[18:19], v[12:13] op_sel:[1,0]
	v_pk_add_f32 v[8:9], v[8:9], v[14:15] neg_lo:[0,1] neg_hi:[0,1]
	v_xor_b32_e32 v14, 0x80000000, v21
	v_mov_b32_e32 v15, v20
	v_pk_mul_f32 v[12:13], v[6:7], v[12:13] op_sel_hi:[0,1]
	v_pk_mul_f32 v[6:7], v[6:7], v[14:15] op_sel_hi:[0,1]
	v_pk_fma_f32 v[6:7], v[20:21], v[26:27], v[6:7] op_sel_hi:[1,0,1]
	v_pk_fma_f32 v[12:13], v[18:19], v[26:27], v[12:13] op_sel_hi:[1,0,1] neg_lo:[1,0,0] neg_hi:[1,0,0]
	v_pk_add_f32 v[6:7], v[8:9], v[6:7] neg_lo:[0,1] neg_hi:[0,1]
	ds_write2_b64 v1, v[4:5], v[10:11] offset1:34
	ds_write2_b64 v1, v[12:13], v[6:7] offset0:68 offset1:136
	v_sub_u32_e64 v4, v0, 4 clamp
	v_lshlrev_b32_e32 v16, 3, v4
	s_waitcnt lgkmcnt(0)
	; wave barrier
	ds_read2_b64 v[4:7], v16 offset1:34
	v_min_u32_e32 v15, 27, v0
	ds_read2_b64 v[8:11], v1 offset1:34
	s_waitcnt lgkmcnt(1)
	v_mul_f32_e32 v12, v7, v7
	v_fmac_f32_e32 v12, v6, v6
	v_div_scale_f32 v13, s[0:1], v12, v12, 1.0
	v_rcp_f32_e32 v14, v13
	v_pk_add_f32 v[28:29], v[4:5], 0 neg_lo:[1,1] neg_hi:[1,1]
	v_fma_f32 v17, -v13, v14, 1.0
	v_fmac_f32_e32 v14, v17, v14
	v_div_scale_f32 v17, vcc, 1.0, v12, 1.0
	v_mul_f32_e32 v18, v17, v14
	v_fma_f32 v19, -v13, v18, v17
	v_fmac_f32_e32 v18, v19, v14
	v_fma_f32 v13, -v13, v18, v17
	v_div_fmas_f32 v13, v13, v14, v18
	v_lshlrev_b32_e32 v18, 3, v15
	v_div_fixup_f32 v17, v13, v12, 1.0
	ds_read2_b64 v[12:15], v18 offset0:4 offset1:38
	s_waitcnt lgkmcnt(1)
	v_mul_f32_e32 v19, v7, v9
	v_fmac_f32_e32 v19, v8, v6
	v_mul_f32_e32 v22, v17, v19
	v_mul_f32_e64 v7, v7, -v8
	s_waitcnt lgkmcnt(0)
	v_mul_f32_e32 v19, v15, v15
	v_fmac_f32_e32 v19, v14, v14
	v_div_scale_f32 v20, s[0:1], v19, v19, 1.0
	v_rcp_f32_e32 v21, v20
	v_fmac_f32_e32 v7, v9, v6
	v_mul_f32_e32 v24, v7, v17
	ds_read2_b64 v[6:9], v1 offset0:68 offset1:136
	v_fma_f32 v17, -v20, v21, 1.0
	v_fmac_f32_e32 v21, v17, v21
	v_div_scale_f32 v17, vcc, 1.0, v19, 1.0
	v_mul_f32_e32 v23, v17, v21
	v_fma_f32 v25, -v20, v23, v17
	v_fmac_f32_e32 v23, v25, v21
	v_fma_f32 v17, -v20, v23, v17
	v_div_fmas_f32 v17, v17, v21, v23
	v_div_fixup_f32 v17, v17, v19, 1.0
	s_waitcnt lgkmcnt(0)
	v_mul_f32_e32 v19, v15, v7
	v_fmac_f32_e32 v19, v6, v14
	v_mul_f32_e64 v6, v15, -v6
	v_fmac_f32_e32 v6, v7, v14
	v_mul_f32_e32 v26, v17, v19
	v_mul_f32_e32 v6, v6, v17
	ds_read2_b64 v[14:17], v16 offset0:68 offset1:136
	ds_read2_b64 v[18:21], v18 offset0:72 offset1:140
	v_pk_mov_b32 v[28:29], v[4:5], v[28:29] op_sel:[1,0]
	s_waitcnt lgkmcnt(0)
	v_pk_mul_f32 v[28:29], v[24:25], v[28:29] op_sel_hi:[0,1]
	v_pk_fma_f32 v[4:5], v[4:5], v[22:23], v[28:29] op_sel_hi:[1,0,1] neg_lo:[1,0,0] neg_hi:[1,0,0]
	v_xor_b32_e32 v28, 0x80000000, v15
	v_mov_b32_e32 v29, v14
	v_pk_mul_f32 v[28:29], v[24:25], v[28:29] op_sel_hi:[0,1]
	v_pk_fma_f32 v[14:15], v[14:15], v[22:23], v[28:29] op_sel_hi:[1,0,1]
	; wave barrier
	s_nop 0
	v_pk_add_f32 v[10:11], v[10:11], v[14:15] neg_lo:[0,1] neg_hi:[0,1]
	v_xor_b32_e32 v14, 0x80000000, v13
	v_mov_b32_e32 v15, v12
	v_pk_mul_f32 v[14:15], v[6:7], v[14:15] op_sel_hi:[0,1]
	v_pk_fma_f32 v[12:13], v[12:13], v[26:27], v[14:15] op_sel_hi:[1,0,1]
	v_xor_b32_e32 v14, 0x80000000, v17
	v_mov_b32_e32 v15, v16
	v_pk_mul_f32 v[14:15], v[24:25], v[14:15] op_sel_hi:[0,1]
	v_pk_add_f32 v[10:11], v[10:11], v[12:13] neg_lo:[0,1] neg_hi:[0,1]
	v_pk_add_f32 v[12:13], v[18:19], 0 neg_lo:[1,1] neg_hi:[1,1]
	v_pk_fma_f32 v[14:15], v[16:17], v[22:23], v[14:15] op_sel_hi:[1,0,1]
	v_pk_mov_b32 v[12:13], v[18:19], v[12:13] op_sel:[1,0]
	v_pk_add_f32 v[8:9], v[8:9], v[14:15] neg_lo:[0,1] neg_hi:[0,1]
	v_xor_b32_e32 v14, 0x80000000, v21
	v_mov_b32_e32 v15, v20
	v_pk_mul_f32 v[12:13], v[6:7], v[12:13] op_sel_hi:[0,1]
	v_pk_mul_f32 v[6:7], v[6:7], v[14:15] op_sel_hi:[0,1]
	v_pk_fma_f32 v[6:7], v[20:21], v[26:27], v[6:7] op_sel_hi:[1,0,1]
	v_pk_fma_f32 v[12:13], v[18:19], v[26:27], v[12:13] op_sel_hi:[1,0,1] neg_lo:[1,0,0] neg_hi:[1,0,0]
	v_pk_add_f32 v[6:7], v[8:9], v[6:7] neg_lo:[0,1] neg_hi:[0,1]
	ds_write2_b64 v1, v[4:5], v[10:11] offset1:34
	ds_write2_b64 v1, v[12:13], v[6:7] offset0:68 offset1:136
	v_sub_u32_e64 v4, v0, 8 clamp
	v_lshlrev_b32_e32 v16, 3, v4
	s_waitcnt lgkmcnt(0)
	; wave barrier
	ds_read2_b64 v[4:7], v16 offset1:34
	v_min_u32_e32 v15, 23, v0
	ds_read2_b64 v[8:11], v1 offset1:34
	s_waitcnt lgkmcnt(1)
	v_mul_f32_e32 v12, v7, v7
	v_fmac_f32_e32 v12, v6, v6
	v_div_scale_f32 v13, s[0:1], v12, v12, 1.0
	v_rcp_f32_e32 v14, v13
	v_pk_add_f32 v[28:29], v[4:5], 0 neg_lo:[1,1] neg_hi:[1,1]
	v_fma_f32 v17, -v13, v14, 1.0
	v_fmac_f32_e32 v14, v17, v14
	v_div_scale_f32 v17, vcc, 1.0, v12, 1.0
	v_mul_f32_e32 v18, v17, v14
	v_fma_f32 v19, -v13, v18, v17
	v_fmac_f32_e32 v18, v19, v14
	v_fma_f32 v13, -v13, v18, v17
	v_div_fmas_f32 v13, v13, v14, v18
	v_lshlrev_b32_e32 v18, 3, v15
	v_div_fixup_f32 v17, v13, v12, 1.0
	ds_read2_b64 v[12:15], v18 offset0:8 offset1:42
	s_waitcnt lgkmcnt(1)
	v_mul_f32_e32 v19, v7, v9
	v_fmac_f32_e32 v19, v8, v6
	v_mul_f32_e32 v22, v17, v19
	v_mul_f32_e64 v7, v7, -v8
	s_waitcnt lgkmcnt(0)
	v_mul_f32_e32 v19, v15, v15
	v_fmac_f32_e32 v19, v14, v14
	v_div_scale_f32 v20, s[0:1], v19, v19, 1.0
	v_rcp_f32_e32 v21, v20
	v_fmac_f32_e32 v7, v9, v6
	v_mul_f32_e32 v24, v7, v17
	ds_read2_b64 v[6:9], v1 offset0:68 offset1:136
	v_fma_f32 v17, -v20, v21, 1.0
	v_fmac_f32_e32 v21, v17, v21
	v_div_scale_f32 v17, vcc, 1.0, v19, 1.0
	v_mul_f32_e32 v23, v17, v21
	v_fma_f32 v25, -v20, v23, v17
	v_fmac_f32_e32 v23, v25, v21
	v_fma_f32 v17, -v20, v23, v17
	v_div_fmas_f32 v17, v17, v21, v23
	v_div_fixup_f32 v17, v17, v19, 1.0
	s_waitcnt lgkmcnt(0)
	v_mul_f32_e32 v19, v15, v7
	v_fmac_f32_e32 v19, v6, v14
	v_mul_f32_e64 v6, v15, -v6
	v_fmac_f32_e32 v6, v7, v14
	v_mul_f32_e32 v26, v17, v19
	v_mul_f32_e32 v6, v6, v17
	ds_read2_b64 v[14:17], v16 offset0:68 offset1:136
	ds_read2_b64 v[18:21], v18 offset0:76 offset1:144
	v_pk_mov_b32 v[28:29], v[4:5], v[28:29] op_sel:[1,0]
	v_cmp_gt_u32_e32 vcc, 16, v0
	v_pk_mul_f32 v[28:29], v[24:25], v[28:29] op_sel_hi:[0,1]
	v_pk_fma_f32 v[4:5], v[4:5], v[22:23], v[28:29] op_sel_hi:[1,0,1] neg_lo:[1,0,0] neg_hi:[1,0,0]
	s_waitcnt lgkmcnt(1)
	v_xor_b32_e32 v28, 0x80000000, v15
	v_mov_b32_e32 v29, v14
	v_pk_mul_f32 v[28:29], v[24:25], v[28:29] op_sel_hi:[0,1]
	v_pk_fma_f32 v[14:15], v[14:15], v[22:23], v[28:29] op_sel_hi:[1,0,1]
	s_waitcnt lgkmcnt(0)
	v_pk_add_f32 v[10:11], v[10:11], v[14:15] neg_lo:[0,1] neg_hi:[0,1]
	v_xor_b32_e32 v14, 0x80000000, v13
	v_mov_b32_e32 v15, v12
	v_pk_mul_f32 v[14:15], v[6:7], v[14:15] op_sel_hi:[0,1]
	v_pk_fma_f32 v[12:13], v[12:13], v[26:27], v[14:15] op_sel_hi:[1,0,1]
	v_xor_b32_e32 v14, 0x80000000, v17
	v_mov_b32_e32 v15, v16
	v_pk_mul_f32 v[14:15], v[24:25], v[14:15] op_sel_hi:[0,1]
	v_pk_add_f32 v[10:11], v[10:11], v[12:13] neg_lo:[0,1] neg_hi:[0,1]
	v_pk_add_f32 v[12:13], v[18:19], 0 neg_lo:[1,1] neg_hi:[1,1]
	v_pk_fma_f32 v[14:15], v[16:17], v[22:23], v[14:15] op_sel_hi:[1,0,1]
	v_pk_mov_b32 v[12:13], v[18:19], v[12:13] op_sel:[1,0]
	v_pk_add_f32 v[8:9], v[8:9], v[14:15] neg_lo:[0,1] neg_hi:[0,1]
	v_xor_b32_e32 v14, 0x80000000, v21
	v_mov_b32_e32 v15, v20
	v_pk_mul_f32 v[12:13], v[6:7], v[12:13] op_sel_hi:[0,1]
	v_pk_mul_f32 v[6:7], v[6:7], v[14:15] op_sel_hi:[0,1]
	v_pk_fma_f32 v[6:7], v[20:21], v[26:27], v[6:7] op_sel_hi:[1,0,1]
	v_pk_fma_f32 v[12:13], v[18:19], v[26:27], v[12:13] op_sel_hi:[1,0,1] neg_lo:[1,0,0] neg_hi:[1,0,0]
	; wave barrier
	v_pk_add_f32 v[6:7], v[8:9], v[6:7] neg_lo:[0,1] neg_hi:[0,1]
	ds_write2_b64 v1, v[4:5], v[10:11] offset1:34
	ds_write2_b64 v1, v[12:13], v[6:7] offset0:68 offset1:136
	s_waitcnt lgkmcnt(0)
	; wave barrier
	s_and_saveexec_b64 s[0:1], vcc
	s_cbranch_execz .LBB46_2
; %bb.1:
	v_add_u32_e32 v0, 0x110, v1
	v_add_u32_e32 v8, 0x220, v1
	;; [unrolled: 1-line block ×3, first 2 shown]
	ds_read2_b64 v[4:7], v0 offset1:16
	ds_read_b64 v[8:9], v8
	ds_read_b32 v0, v23
	ds_read_b64 v[10:11], v23
	ds_read_b64 v[12:13], v1 offset:128
	s_waitcnt lgkmcnt(4)
	v_xor_b32_e32 v14, 0x80000000, v7
	s_waitcnt lgkmcnt(3)
	v_xor_b32_e32 v16, 0x80000000, v9
	v_mov_b32_e32 v15, v6
	v_mov_b32_e32 v17, v8
	v_pk_mul_f32 v[18:19], v[4:5], v[14:15] op_sel:[1,0]
	s_waitcnt lgkmcnt(0)
	v_pk_mul_f32 v[20:21], v[12:13], v[16:17] op_sel:[1,0]
	v_pk_fma_f32 v[18:19], v[6:7], v[4:5], v[18:19] op_sel_hi:[1,0,1]
	v_pk_fma_f32 v[20:21], v[8:9], v[12:13], v[20:21] op_sel_hi:[1,0,1]
	s_nop 0
	v_pk_add_f32 v[18:19], v[18:19], v[20:21] neg_lo:[0,1] neg_hi:[0,1]
	ds_read2_b32 v[20:21], v23 offset0:1 offset1:32
	ds_read_b32 v22, v23 offset:132
	v_mul_f32_e32 v24, v19, v19
	v_fmac_f32_e32 v24, v18, v18
	v_div_scale_f32 v25, s[2:3], v24, v24, 1.0
	v_rcp_f32_e32 v26, v25
	s_waitcnt lgkmcnt(1)
	v_pk_mul_f32 v[14:15], v[20:21], v[14:15] op_sel_hi:[0,1]
	v_pk_fma_f32 v[6:7], v[6:7], v[0:1], v[14:15] op_sel_hi:[1,0,1]
	ds_read_b64 v[14:15], v23 offset:128
	v_fma_f32 v27, -v25, v26, 1.0
	v_fmac_f32_e32 v26, v27, v26
	v_div_scale_f32 v27, vcc, 1.0, v24, 1.0
	v_mul_f32_e32 v28, v27, v26
	v_fma_f32 v29, -v25, v28, v27
	v_fmac_f32_e32 v28, v29, v26
	v_fma_f32 v25, -v25, v28, v27
	s_waitcnt lgkmcnt(1)
	v_pk_mul_f32 v[16:17], v[22:23], v[16:17] op_sel_hi:[0,1]
	v_mov_b32_e32 v0, v21
	v_div_fmas_f32 v25, v25, v26, v28
	v_pk_fma_f32 v[8:9], v[8:9], v[0:1], v[16:17] op_sel_hi:[1,0,1]
	v_div_fixup_f32 v25, v25, v24, 1.0
	v_fma_f32 v24, 0, v19, v18
	v_fma_f32 v18, v18, 0, -v19
	v_pk_add_f32 v[6:7], v[6:7], v[8:9] neg_lo:[0,1] neg_hi:[0,1]
	v_mul_f32_e32 v18, v18, v25
	v_xor_b32_e32 v8, 0x80000000, v7
	v_mov_b32_e32 v9, v6
	v_mul_f32_e32 v24, v24, v25
	v_pk_mul_f32 v[8:9], v[18:19], v[8:9] op_sel_hi:[0,1]
	v_pk_fma_f32 v[6:7], v[6:7], v[24:25], v[8:9] op_sel_hi:[1,0,1]
	s_waitcnt lgkmcnt(0)
	v_xor_b32_e32 v8, 0x80000000, v15
	v_mov_b32_e32 v9, v14
	v_pk_mul_f32 v[8:9], v[4:5], v[8:9] op_sel:[1,0]
	s_nop 0
	v_pk_fma_f32 v[4:5], v[14:15], v[4:5], v[8:9] op_sel_hi:[1,0,1]
	v_xor_b32_e32 v8, 0x80000000, v11
	v_mov_b32_e32 v9, v10
	v_pk_mul_f32 v[8:9], v[12:13], v[8:9] op_sel:[1,0]
	s_nop 0
	v_pk_fma_f32 v[8:9], v[10:11], v[12:13], v[8:9] op_sel_hi:[1,0,1]
	s_nop 0
	v_pk_add_f32 v[4:5], v[4:5], v[8:9] neg_lo:[0,1] neg_hi:[0,1]
	s_nop 0
	v_xor_b32_e32 v8, 0x80000000, v5
	v_mov_b32_e32 v9, v4
	v_pk_mul_f32 v[8:9], v[18:19], v[8:9] op_sel_hi:[0,1]
	v_pk_fma_f32 v[4:5], v[4:5], v[24:25], v[8:9] op_sel_hi:[1,0,1]
	ds_write2_b64 v1, v[6:7], v[4:5] offset0:102 offset1:118
.LBB46_2:
	s_or_b64 exec, exec, s[0:1]
	s_waitcnt lgkmcnt(0)
	; wave barrier
	ds_read_b64 v[0:1], v1 offset:816
	s_waitcnt lgkmcnt(0)
	global_store_dwordx2 v[2:3], v[0:1], off
	s_endpgm
	.section	.rodata,"a",@progbits
	.p2align	6, 0x0
	.amdhsa_kernel _ZN9rocsparseL49gtsv_nopivot_strided_batch_pcr_pow2_shared_kernelILj32E21rocsparse_complex_numIfEEEviiiPKT0_S5_S5_PS3_
		.amdhsa_group_segment_fixed_size 1352
		.amdhsa_private_segment_fixed_size 0
		.amdhsa_kernarg_size 48
		.amdhsa_user_sgpr_count 2
		.amdhsa_user_sgpr_dispatch_ptr 0
		.amdhsa_user_sgpr_queue_ptr 0
		.amdhsa_user_sgpr_kernarg_segment_ptr 1
		.amdhsa_user_sgpr_dispatch_id 0
		.amdhsa_user_sgpr_kernarg_preload_length 0
		.amdhsa_user_sgpr_kernarg_preload_offset 0
		.amdhsa_user_sgpr_private_segment_size 0
		.amdhsa_uses_dynamic_stack 0
		.amdhsa_enable_private_segment 0
		.amdhsa_system_sgpr_workgroup_id_x 1
		.amdhsa_system_sgpr_workgroup_id_y 0
		.amdhsa_system_sgpr_workgroup_id_z 0
		.amdhsa_system_sgpr_workgroup_info 0
		.amdhsa_system_vgpr_workitem_id 0
		.amdhsa_next_free_vgpr 49
		.amdhsa_next_free_sgpr 12
		.amdhsa_accum_offset 52
		.amdhsa_reserve_vcc 1
		.amdhsa_float_round_mode_32 0
		.amdhsa_float_round_mode_16_64 0
		.amdhsa_float_denorm_mode_32 3
		.amdhsa_float_denorm_mode_16_64 3
		.amdhsa_dx10_clamp 1
		.amdhsa_ieee_mode 1
		.amdhsa_fp16_overflow 0
		.amdhsa_tg_split 0
		.amdhsa_exception_fp_ieee_invalid_op 0
		.amdhsa_exception_fp_denorm_src 0
		.amdhsa_exception_fp_ieee_div_zero 0
		.amdhsa_exception_fp_ieee_overflow 0
		.amdhsa_exception_fp_ieee_underflow 0
		.amdhsa_exception_fp_ieee_inexact 0
		.amdhsa_exception_int_div_zero 0
	.end_amdhsa_kernel
	.section	.text._ZN9rocsparseL49gtsv_nopivot_strided_batch_pcr_pow2_shared_kernelILj32E21rocsparse_complex_numIfEEEviiiPKT0_S5_S5_PS3_,"axG",@progbits,_ZN9rocsparseL49gtsv_nopivot_strided_batch_pcr_pow2_shared_kernelILj32E21rocsparse_complex_numIfEEEviiiPKT0_S5_S5_PS3_,comdat
.Lfunc_end46:
	.size	_ZN9rocsparseL49gtsv_nopivot_strided_batch_pcr_pow2_shared_kernelILj32E21rocsparse_complex_numIfEEEviiiPKT0_S5_S5_PS3_, .Lfunc_end46-_ZN9rocsparseL49gtsv_nopivot_strided_batch_pcr_pow2_shared_kernelILj32E21rocsparse_complex_numIfEEEviiiPKT0_S5_S5_PS3_
                                        ; -- End function
	.set _ZN9rocsparseL49gtsv_nopivot_strided_batch_pcr_pow2_shared_kernelILj32E21rocsparse_complex_numIfEEEviiiPKT0_S5_S5_PS3_.num_vgpr, 49
	.set _ZN9rocsparseL49gtsv_nopivot_strided_batch_pcr_pow2_shared_kernelILj32E21rocsparse_complex_numIfEEEviiiPKT0_S5_S5_PS3_.num_agpr, 0
	.set _ZN9rocsparseL49gtsv_nopivot_strided_batch_pcr_pow2_shared_kernelILj32E21rocsparse_complex_numIfEEEviiiPKT0_S5_S5_PS3_.numbered_sgpr, 12
	.set _ZN9rocsparseL49gtsv_nopivot_strided_batch_pcr_pow2_shared_kernelILj32E21rocsparse_complex_numIfEEEviiiPKT0_S5_S5_PS3_.num_named_barrier, 0
	.set _ZN9rocsparseL49gtsv_nopivot_strided_batch_pcr_pow2_shared_kernelILj32E21rocsparse_complex_numIfEEEviiiPKT0_S5_S5_PS3_.private_seg_size, 0
	.set _ZN9rocsparseL49gtsv_nopivot_strided_batch_pcr_pow2_shared_kernelILj32E21rocsparse_complex_numIfEEEviiiPKT0_S5_S5_PS3_.uses_vcc, 1
	.set _ZN9rocsparseL49gtsv_nopivot_strided_batch_pcr_pow2_shared_kernelILj32E21rocsparse_complex_numIfEEEviiiPKT0_S5_S5_PS3_.uses_flat_scratch, 0
	.set _ZN9rocsparseL49gtsv_nopivot_strided_batch_pcr_pow2_shared_kernelILj32E21rocsparse_complex_numIfEEEviiiPKT0_S5_S5_PS3_.has_dyn_sized_stack, 0
	.set _ZN9rocsparseL49gtsv_nopivot_strided_batch_pcr_pow2_shared_kernelILj32E21rocsparse_complex_numIfEEEviiiPKT0_S5_S5_PS3_.has_recursion, 0
	.set _ZN9rocsparseL49gtsv_nopivot_strided_batch_pcr_pow2_shared_kernelILj32E21rocsparse_complex_numIfEEEviiiPKT0_S5_S5_PS3_.has_indirect_call, 0
	.section	.AMDGPU.csdata,"",@progbits
; Kernel info:
; codeLenInByte = 2792
; TotalNumSgprs: 18
; NumVgprs: 49
; NumAgprs: 0
; TotalNumVgprs: 49
; ScratchSize: 0
; MemoryBound: 0
; FloatMode: 240
; IeeeMode: 1
; LDSByteSize: 1352 bytes/workgroup (compile time only)
; SGPRBlocks: 2
; VGPRBlocks: 6
; NumSGPRsForWavesPerEU: 18
; NumVGPRsForWavesPerEU: 49
; AccumOffset: 52
; Occupancy: 8
; WaveLimiterHint : 0
; COMPUTE_PGM_RSRC2:SCRATCH_EN: 0
; COMPUTE_PGM_RSRC2:USER_SGPR: 2
; COMPUTE_PGM_RSRC2:TRAP_HANDLER: 0
; COMPUTE_PGM_RSRC2:TGID_X_EN: 1
; COMPUTE_PGM_RSRC2:TGID_Y_EN: 0
; COMPUTE_PGM_RSRC2:TGID_Z_EN: 0
; COMPUTE_PGM_RSRC2:TIDIG_COMP_CNT: 0
; COMPUTE_PGM_RSRC3_GFX90A:ACCUM_OFFSET: 12
; COMPUTE_PGM_RSRC3_GFX90A:TG_SPLIT: 0
	.section	.text._ZN9rocsparseL49gtsv_nopivot_strided_batch_pcr_pow2_shared_kernelILj64E21rocsparse_complex_numIfEEEviiiPKT0_S5_S5_PS3_,"axG",@progbits,_ZN9rocsparseL49gtsv_nopivot_strided_batch_pcr_pow2_shared_kernelILj64E21rocsparse_complex_numIfEEEviiiPKT0_S5_S5_PS3_,comdat
	.globl	_ZN9rocsparseL49gtsv_nopivot_strided_batch_pcr_pow2_shared_kernelILj64E21rocsparse_complex_numIfEEEviiiPKT0_S5_S5_PS3_ ; -- Begin function _ZN9rocsparseL49gtsv_nopivot_strided_batch_pcr_pow2_shared_kernelILj64E21rocsparse_complex_numIfEEEviiiPKT0_S5_S5_PS3_
	.p2align	8
	.type	_ZN9rocsparseL49gtsv_nopivot_strided_batch_pcr_pow2_shared_kernelILj64E21rocsparse_complex_numIfEEEviiiPKT0_S5_S5_PS3_,@function
_ZN9rocsparseL49gtsv_nopivot_strided_batch_pcr_pow2_shared_kernelILj64E21rocsparse_complex_numIfEEEviiiPKT0_S5_S5_PS3_: ; @_ZN9rocsparseL49gtsv_nopivot_strided_batch_pcr_pow2_shared_kernelILj64E21rocsparse_complex_numIfEEEviiiPKT0_S5_S5_PS3_
; %bb.0:
	s_load_dword s3, s[0:1], 0x8
	s_load_dwordx8 s[4:11], s[0:1], 0x10
	v_sub_u32_e64 v14, v0, 1 clamp
	v_lshlrev_b32_e32 v14, 3, v14
	v_lshlrev_b32_e32 v1, 3, v0
	s_waitcnt lgkmcnt(0)
	s_mul_i32 s3, s3, s2
	v_add_u32_e32 v2, s3, v0
	v_ashrrev_i32_e32 v3, 31, v2
	v_lshlrev_b64 v[2:3], 3, v[2:3]
	v_lshl_add_u64 v[4:5], s[4:5], 0, v[2:3]
	v_lshl_add_u64 v[6:7], s[6:7], 0, v[2:3]
	global_load_dwordx2 v[8:9], v[4:5], off
	global_load_dwordx2 v[10:11], v[6:7], off
	v_lshl_add_u64 v[4:5], s[8:9], 0, v[2:3]
	v_lshl_add_u64 v[2:3], s[10:11], 0, v[2:3]
	global_load_dwordx2 v[6:7], v[4:5], off
	global_load_dwordx2 v[12:13], v[2:3], off
	v_min_u32_e32 v5, 62, v0
	v_lshlrev_b32_e32 v5, 3, v5
	v_sub_u32_e64 v15, v0, 2 clamp
	v_add_u32_e32 v22, 0x400, v14
	v_add_u32_e32 v26, 0x400, v5
	;; [unrolled: 1-line block ×3, first 2 shown]
	v_lshlrev_b32_e32 v42, 3, v15
	s_waitcnt vmcnt(2)
	ds_write2_b64 v1, v[8:9], v[10:11] offset1:66
	s_waitcnt vmcnt(0)
	ds_write2_b64 v4, v[6:7], v[12:13] offset0:4 offset1:136
	s_waitcnt lgkmcnt(0)
	; wave barrier
	ds_read2_b64 v[6:9], v1 offset1:66
	ds_read2_b64 v[10:13], v14 offset1:66
	ds_read2_b64 v[14:17], v4 offset0:4 offset1:136
	ds_read2_b64 v[18:21], v5 offset0:1 offset1:67
	;; [unrolled: 1-line block ×4, first 2 shown]
	s_waitcnt lgkmcnt(4)
	v_mul_f32_e32 v5, v13, v13
	v_fmac_f32_e32 v5, v12, v12
	s_waitcnt lgkmcnt(2)
	v_mul_f32_e32 v45, v21, v21
	v_mul_f32_e32 v46, v21, v15
	;; [unrolled: 1-line block ×3, first 2 shown]
	v_mul_f32_e64 v44, v13, -v6
	v_mul_f32_e64 v21, v21, -v14
	v_pk_add_f32 v[30:31], v[10:11], 0 neg_lo:[1,1] neg_hi:[1,1]
	v_fmac_f32_e32 v45, v20, v20
	v_fmac_f32_e32 v46, v14, v20
	v_div_scale_f32 v14, s[0:1], v5, v5, 1.0
	v_fmac_f32_e32 v43, v6, v12
	v_fmac_f32_e32 v44, v7, v12
	;; [unrolled: 1-line block ×3, first 2 shown]
	v_pk_mov_b32 v[6:7], v[10:11], v[30:31] op_sel:[1,0]
	v_div_scale_f32 v20, s[0:1], v45, v45, 1.0
	v_rcp_f32_e32 v30, v14
	v_rcp_f32_e32 v31, v20
	s_waitcnt lgkmcnt(0)
	v_pk_add_f32 v[36:37], v[26:27], 0 neg_lo:[1,1] neg_hi:[1,1]
	v_div_scale_f32 v15, vcc, 1.0, v5, 1.0
	v_pk_mov_b32 v[12:13], v[26:27], v[36:37] op_sel:[1,0]
	v_fma_f32 v37, -v14, v30, 1.0
	v_fma_f32 v47, -v20, v31, 1.0
	v_fmac_f32_e32 v30, v37, v30
	v_div_scale_f32 v36, s[0:1], 1.0, v45, 1.0
	v_fmac_f32_e32 v31, v47, v31
	v_mul_f32_e32 v37, v15, v30
	v_mul_f32_e32 v47, v36, v31
	v_fma_f32 v48, -v14, v37, v15
	v_fma_f32 v49, -v20, v47, v36
	v_fmac_f32_e32 v37, v48, v30
	v_fmac_f32_e32 v47, v49, v31
	v_fma_f32 v14, -v14, v37, v15
	v_fma_f32 v15, -v20, v47, v36
	v_div_fmas_f32 v14, v14, v30, v37
	s_mov_b64 vcc, s[0:1]
	v_div_fixup_f32 v5, v14, v5, 1.0
	v_div_fmas_f32 v15, v15, v31, v47
	v_xor_b32_e32 v32, 0x80000000, v23
	v_mov_b32_e32 v33, v22
	v_mul_f32_e32 v14, v5, v43
	v_mul_f32_e32 v20, v44, v5
	v_div_fixup_f32 v5, v15, v45, 1.0
	v_xor_b32_e32 v34, 0x80000000, v19
	v_mov_b32_e32 v35, v18
	v_xor_b32_e32 v38, 0x80000000, v25
	v_mov_b32_e32 v39, v24
	v_mul_f32_e32 v36, v21, v5
	v_pk_mul_f32 v[6:7], v[20:21], v[6:7] op_sel_hi:[0,1]
	v_pk_mul_f32 v[32:33], v[20:21], v[32:33] op_sel_hi:[0,1]
	v_xor_b32_e32 v40, 0x80000000, v29
	v_mov_b32_e32 v41, v28
	v_mul_f32_e32 v30, v5, v46
	v_pk_mul_f32 v[20:21], v[20:21], v[38:39] op_sel_hi:[0,1]
	v_pk_fma_f32 v[6:7], v[10:11], v[14:15], v[6:7] op_sel_hi:[1,0,1] neg_lo:[1,0,0] neg_hi:[1,0,0]
	v_pk_fma_f32 v[10:11], v[22:23], v[14:15], v[32:33] op_sel_hi:[1,0,1]
	v_pk_mul_f32 v[22:23], v[36:37], v[34:35] op_sel_hi:[0,1]
	v_pk_fma_f32 v[14:15], v[24:25], v[14:15], v[20:21] op_sel_hi:[1,0,1]
	v_pk_mul_f32 v[20:21], v[36:37], v[40:41] op_sel_hi:[0,1]
	v_pk_add_f32 v[8:9], v[8:9], v[10:11] neg_lo:[0,1] neg_hi:[0,1]
	v_pk_fma_f32 v[10:11], v[18:19], v[30:31], v[22:23] op_sel_hi:[1,0,1]
	v_pk_mul_f32 v[12:13], v[36:37], v[12:13] op_sel_hi:[0,1]
	v_pk_add_f32 v[14:15], v[16:17], v[14:15] neg_lo:[0,1] neg_hi:[0,1]
	v_pk_fma_f32 v[16:17], v[28:29], v[30:31], v[20:21] op_sel_hi:[1,0,1]
	v_pk_add_f32 v[8:9], v[8:9], v[10:11] neg_lo:[0,1] neg_hi:[0,1]
	; wave barrier
	v_pk_fma_f32 v[12:13], v[26:27], v[30:31], v[12:13] op_sel_hi:[1,0,1] neg_lo:[1,0,0] neg_hi:[1,0,0]
	v_pk_add_f32 v[10:11], v[14:15], v[16:17] neg_lo:[0,1] neg_hi:[0,1]
	ds_write2_b64 v1, v[6:7], v[8:9] offset1:66
	ds_write2_b64 v4, v[12:13], v[10:11] offset0:4 offset1:136
	s_waitcnt lgkmcnt(0)
	; wave barrier
	ds_read2_b64 v[6:9], v42 offset1:66
	v_min_u32_e32 v5, 61, v0
	ds_read2_b64 v[10:13], v1 offset1:66
	v_lshlrev_b32_e32 v5, 3, v5
	ds_read2_b64 v[14:17], v5 offset0:2 offset1:68
	s_waitcnt lgkmcnt(2)
	v_mul_f32_e32 v18, v9, v9
	v_fmac_f32_e32 v18, v8, v8
	v_div_scale_f32 v19, s[0:1], v18, v18, 1.0
	v_rcp_f32_e32 v20, v19
	v_div_scale_f32 v21, vcc, 1.0, v18, 1.0
	v_pk_add_f32 v[30:31], v[6:7], 0 neg_lo:[1,1] neg_hi:[1,1]
	v_fma_f32 v22, -v19, v20, 1.0
	v_fmac_f32_e32 v20, v22, v20
	v_mul_f32_e32 v22, v21, v20
	v_fma_f32 v23, -v19, v22, v21
	v_fmac_f32_e32 v22, v23, v20
	v_fma_f32 v19, -v19, v22, v21
	v_div_fmas_f32 v19, v19, v20, v22
	v_div_fixup_f32 v18, v19, v18, 1.0
	s_waitcnt lgkmcnt(1)
	v_mul_f32_e32 v19, v9, v11
	v_fmac_f32_e32 v19, v10, v8
	v_mul_f32_e32 v24, v18, v19
	s_waitcnt lgkmcnt(0)
	v_mul_f32_e32 v19, v17, v17
	v_fmac_f32_e32 v19, v16, v16
	v_div_scale_f32 v20, s[0:1], v19, v19, 1.0
	v_rcp_f32_e32 v21, v20
	v_mul_f32_e64 v9, v9, -v10
	v_fmac_f32_e32 v9, v11, v8
	v_mul_f32_e32 v26, v9, v18
	v_fma_f32 v18, -v20, v21, 1.0
	v_fmac_f32_e32 v21, v18, v21
	v_div_scale_f32 v18, vcc, 1.0, v19, 1.0
	ds_read2_b64 v[8:11], v4 offset0:4 offset1:136
	v_mul_f32_e32 v22, v18, v21
	v_fma_f32 v23, -v20, v22, v18
	v_fmac_f32_e32 v22, v23, v21
	v_fma_f32 v18, -v20, v22, v18
	v_div_fmas_f32 v18, v18, v21, v22
	v_div_fixup_f32 v18, v18, v19, 1.0
	s_waitcnt lgkmcnt(0)
	v_mul_f32_e32 v19, v17, v9
	v_fmac_f32_e32 v19, v8, v16
	v_mul_f32_e64 v8, v17, -v8
	v_fmac_f32_e32 v8, v9, v16
	v_add_u32_e32 v9, 0x400, v42
	v_mul_f32_e32 v28, v18, v19
	v_mul_f32_e32 v8, v8, v18
	ds_read2_b64 v[16:19], v9 offset0:4 offset1:136
	v_pk_mov_b32 v[30:31], v[6:7], v[30:31] op_sel:[1,0]
	v_add_u32_e32 v5, 0x400, v5
	v_pk_mul_f32 v[30:31], v[26:27], v[30:31] op_sel_hi:[0,1]
	v_pk_fma_f32 v[6:7], v[6:7], v[24:25], v[30:31] op_sel_hi:[1,0,1] neg_lo:[1,0,0] neg_hi:[1,0,0]
	s_waitcnt lgkmcnt(0)
	v_xor_b32_e32 v30, 0x80000000, v17
	v_mov_b32_e32 v31, v16
	v_pk_mul_f32 v[30:31], v[26:27], v[30:31] op_sel_hi:[0,1]
	ds_read2_b64 v[20:23], v5 offset0:6 offset1:138
	v_pk_fma_f32 v[16:17], v[16:17], v[24:25], v[30:31] op_sel_hi:[1,0,1]
	v_sub_u32_e64 v5, v0, 4 clamp
	v_pk_add_f32 v[12:13], v[12:13], v[16:17] neg_lo:[0,1] neg_hi:[0,1]
	v_xor_b32_e32 v16, 0x80000000, v15
	v_mov_b32_e32 v17, v14
	v_pk_mul_f32 v[16:17], v[8:9], v[16:17] op_sel_hi:[0,1]
	v_pk_fma_f32 v[14:15], v[14:15], v[28:29], v[16:17] op_sel_hi:[1,0,1]
	v_xor_b32_e32 v16, 0x80000000, v19
	v_mov_b32_e32 v17, v18
	v_pk_mul_f32 v[16:17], v[26:27], v[16:17] op_sel_hi:[0,1]
	v_pk_add_f32 v[12:13], v[12:13], v[14:15] neg_lo:[0,1] neg_hi:[0,1]
	s_waitcnt lgkmcnt(0)
	v_pk_add_f32 v[14:15], v[20:21], 0 neg_lo:[1,1] neg_hi:[1,1]
	v_pk_fma_f32 v[16:17], v[18:19], v[24:25], v[16:17] op_sel_hi:[1,0,1]
	v_pk_mov_b32 v[14:15], v[20:21], v[14:15] op_sel:[1,0]
	v_pk_add_f32 v[10:11], v[10:11], v[16:17] neg_lo:[0,1] neg_hi:[0,1]
	v_xor_b32_e32 v16, 0x80000000, v23
	v_mov_b32_e32 v17, v22
	v_pk_mul_f32 v[14:15], v[8:9], v[14:15] op_sel_hi:[0,1]
	v_pk_mul_f32 v[8:9], v[8:9], v[16:17] op_sel_hi:[0,1]
	v_pk_fma_f32 v[8:9], v[22:23], v[28:29], v[8:9] op_sel_hi:[1,0,1]
	v_lshlrev_b32_e32 v5, 3, v5
	v_pk_add_f32 v[8:9], v[10:11], v[8:9] neg_lo:[0,1] neg_hi:[0,1]
	v_pk_fma_f32 v[14:15], v[20:21], v[28:29], v[14:15] op_sel_hi:[1,0,1] neg_lo:[1,0,0] neg_hi:[1,0,0]
	; wave barrier
	ds_write2_b64 v1, v[6:7], v[12:13] offset1:66
	ds_write2_b64 v4, v[14:15], v[8:9] offset0:4 offset1:136
	s_waitcnt lgkmcnt(0)
	; wave barrier
	ds_read2_b64 v[6:9], v5 offset1:66
	v_min_u32_e32 v17, 59, v0
	ds_read2_b64 v[10:13], v1 offset1:66
	v_add_u32_e32 v5, 0x400, v5
	s_waitcnt lgkmcnt(1)
	v_mul_f32_e32 v14, v9, v9
	v_fmac_f32_e32 v14, v8, v8
	v_div_scale_f32 v15, s[0:1], v14, v14, 1.0
	v_rcp_f32_e32 v16, v15
	v_pk_add_f32 v[30:31], v[6:7], 0 neg_lo:[1,1] neg_hi:[1,1]
	v_fma_f32 v18, -v15, v16, 1.0
	v_fmac_f32_e32 v16, v18, v16
	v_div_scale_f32 v18, vcc, 1.0, v14, 1.0
	v_mul_f32_e32 v19, v18, v16
	v_fma_f32 v20, -v15, v19, v18
	v_fmac_f32_e32 v19, v20, v16
	v_fma_f32 v15, -v15, v19, v18
	v_div_fmas_f32 v15, v15, v16, v19
	v_lshlrev_b32_e32 v20, 3, v17
	v_div_fixup_f32 v18, v15, v14, 1.0
	ds_read2_b64 v[14:17], v20 offset0:4 offset1:70
	s_waitcnt lgkmcnt(1)
	v_mul_f32_e32 v19, v9, v11
	v_fmac_f32_e32 v19, v10, v8
	v_mul_f32_e32 v24, v18, v19
	v_mul_f32_e64 v9, v9, -v10
	s_waitcnt lgkmcnt(0)
	v_mul_f32_e32 v19, v17, v17
	v_fmac_f32_e32 v19, v16, v16
	v_div_scale_f32 v21, s[0:1], v19, v19, 1.0
	v_rcp_f32_e32 v22, v21
	v_fmac_f32_e32 v9, v11, v8
	v_mul_f32_e32 v26, v9, v18
	ds_read2_b64 v[8:11], v4 offset0:4 offset1:136
	v_fma_f32 v18, -v21, v22, 1.0
	v_fmac_f32_e32 v22, v18, v22
	v_div_scale_f32 v18, vcc, 1.0, v19, 1.0
	v_mul_f32_e32 v23, v18, v22
	v_fma_f32 v25, -v21, v23, v18
	v_fmac_f32_e32 v23, v25, v22
	v_fma_f32 v18, -v21, v23, v18
	v_div_fmas_f32 v18, v18, v22, v23
	v_div_fixup_f32 v18, v18, v19, 1.0
	s_waitcnt lgkmcnt(0)
	v_mul_f32_e32 v19, v17, v9
	v_fmac_f32_e32 v19, v8, v16
	v_mul_f32_e64 v8, v17, -v8
	v_fmac_f32_e32 v8, v9, v16
	v_mul_f32_e32 v28, v18, v19
	v_mul_f32_e32 v8, v8, v18
	ds_read2_b64 v[16:19], v5 offset0:4 offset1:136
	v_pk_mov_b32 v[30:31], v[6:7], v[30:31] op_sel:[1,0]
	v_add_u32_e32 v5, 0x400, v20
	v_pk_mul_f32 v[30:31], v[26:27], v[30:31] op_sel_hi:[0,1]
	v_pk_fma_f32 v[6:7], v[6:7], v[24:25], v[30:31] op_sel_hi:[1,0,1] neg_lo:[1,0,0] neg_hi:[1,0,0]
	s_waitcnt lgkmcnt(0)
	v_xor_b32_e32 v30, 0x80000000, v17
	v_mov_b32_e32 v31, v16
	v_pk_mul_f32 v[30:31], v[26:27], v[30:31] op_sel_hi:[0,1]
	ds_read2_b64 v[20:23], v5 offset0:8 offset1:140
	v_pk_fma_f32 v[16:17], v[16:17], v[24:25], v[30:31] op_sel_hi:[1,0,1]
	v_sub_u32_e64 v5, v0, 8 clamp
	v_pk_add_f32 v[12:13], v[12:13], v[16:17] neg_lo:[0,1] neg_hi:[0,1]
	v_xor_b32_e32 v16, 0x80000000, v15
	v_mov_b32_e32 v17, v14
	v_pk_mul_f32 v[16:17], v[8:9], v[16:17] op_sel_hi:[0,1]
	v_pk_fma_f32 v[14:15], v[14:15], v[28:29], v[16:17] op_sel_hi:[1,0,1]
	v_xor_b32_e32 v16, 0x80000000, v19
	v_mov_b32_e32 v17, v18
	v_pk_mul_f32 v[16:17], v[26:27], v[16:17] op_sel_hi:[0,1]
	v_pk_add_f32 v[12:13], v[12:13], v[14:15] neg_lo:[0,1] neg_hi:[0,1]
	s_waitcnt lgkmcnt(0)
	v_pk_add_f32 v[14:15], v[20:21], 0 neg_lo:[1,1] neg_hi:[1,1]
	v_pk_fma_f32 v[16:17], v[18:19], v[24:25], v[16:17] op_sel_hi:[1,0,1]
	v_pk_mov_b32 v[14:15], v[20:21], v[14:15] op_sel:[1,0]
	v_pk_add_f32 v[10:11], v[10:11], v[16:17] neg_lo:[0,1] neg_hi:[0,1]
	v_xor_b32_e32 v16, 0x80000000, v23
	v_mov_b32_e32 v17, v22
	v_pk_mul_f32 v[14:15], v[8:9], v[14:15] op_sel_hi:[0,1]
	v_pk_mul_f32 v[8:9], v[8:9], v[16:17] op_sel_hi:[0,1]
	v_pk_fma_f32 v[8:9], v[22:23], v[28:29], v[8:9] op_sel_hi:[1,0,1]
	v_lshlrev_b32_e32 v5, 3, v5
	v_pk_add_f32 v[8:9], v[10:11], v[8:9] neg_lo:[0,1] neg_hi:[0,1]
	v_pk_fma_f32 v[14:15], v[20:21], v[28:29], v[14:15] op_sel_hi:[1,0,1] neg_lo:[1,0,0] neg_hi:[1,0,0]
	; wave barrier
	ds_write2_b64 v1, v[6:7], v[12:13] offset1:66
	ds_write2_b64 v4, v[14:15], v[8:9] offset0:4 offset1:136
	s_waitcnt lgkmcnt(0)
	; wave barrier
	ds_read2_b64 v[6:9], v5 offset1:66
	v_min_u32_e32 v17, 55, v0
	ds_read2_b64 v[10:13], v1 offset1:66
	v_add_u32_e32 v5, 0x400, v5
	s_waitcnt lgkmcnt(1)
	v_mul_f32_e32 v14, v9, v9
	v_fmac_f32_e32 v14, v8, v8
	v_div_scale_f32 v15, s[0:1], v14, v14, 1.0
	v_rcp_f32_e32 v16, v15
	v_pk_add_f32 v[30:31], v[6:7], 0 neg_lo:[1,1] neg_hi:[1,1]
	v_fma_f32 v18, -v15, v16, 1.0
	v_fmac_f32_e32 v16, v18, v16
	v_div_scale_f32 v18, vcc, 1.0, v14, 1.0
	v_mul_f32_e32 v19, v18, v16
	v_fma_f32 v20, -v15, v19, v18
	v_fmac_f32_e32 v19, v20, v16
	v_fma_f32 v15, -v15, v19, v18
	v_div_fmas_f32 v15, v15, v16, v19
	v_lshlrev_b32_e32 v20, 3, v17
	v_div_fixup_f32 v18, v15, v14, 1.0
	ds_read2_b64 v[14:17], v20 offset0:8 offset1:74
	s_waitcnt lgkmcnt(1)
	v_mul_f32_e32 v19, v9, v11
	v_fmac_f32_e32 v19, v10, v8
	v_mul_f32_e32 v24, v18, v19
	v_mul_f32_e64 v9, v9, -v10
	s_waitcnt lgkmcnt(0)
	v_mul_f32_e32 v19, v17, v17
	v_fmac_f32_e32 v19, v16, v16
	v_div_scale_f32 v21, s[0:1], v19, v19, 1.0
	v_rcp_f32_e32 v22, v21
	v_fmac_f32_e32 v9, v11, v8
	v_mul_f32_e32 v26, v9, v18
	ds_read2_b64 v[8:11], v4 offset0:4 offset1:136
	v_fma_f32 v18, -v21, v22, 1.0
	v_fmac_f32_e32 v22, v18, v22
	v_div_scale_f32 v18, vcc, 1.0, v19, 1.0
	v_mul_f32_e32 v23, v18, v22
	v_fma_f32 v25, -v21, v23, v18
	v_fmac_f32_e32 v23, v25, v22
	v_fma_f32 v18, -v21, v23, v18
	v_div_fmas_f32 v18, v18, v22, v23
	v_div_fixup_f32 v18, v18, v19, 1.0
	s_waitcnt lgkmcnt(0)
	v_mul_f32_e32 v19, v17, v9
	v_fmac_f32_e32 v19, v8, v16
	v_mul_f32_e64 v8, v17, -v8
	v_fmac_f32_e32 v8, v9, v16
	v_mul_f32_e32 v28, v18, v19
	v_mul_f32_e32 v8, v8, v18
	ds_read2_b64 v[16:19], v5 offset0:4 offset1:136
	v_pk_mov_b32 v[30:31], v[6:7], v[30:31] op_sel:[1,0]
	v_add_u32_e32 v5, 0x400, v20
	v_pk_mul_f32 v[30:31], v[26:27], v[30:31] op_sel_hi:[0,1]
	v_pk_fma_f32 v[6:7], v[6:7], v[24:25], v[30:31] op_sel_hi:[1,0,1] neg_lo:[1,0,0] neg_hi:[1,0,0]
	s_waitcnt lgkmcnt(0)
	v_xor_b32_e32 v30, 0x80000000, v17
	v_mov_b32_e32 v31, v16
	v_pk_mul_f32 v[30:31], v[26:27], v[30:31] op_sel_hi:[0,1]
	ds_read2_b64 v[20:23], v5 offset0:12 offset1:144
	v_pk_fma_f32 v[16:17], v[16:17], v[24:25], v[30:31] op_sel_hi:[1,0,1]
	v_sub_u32_e64 v5, v0, 16 clamp
	v_pk_add_f32 v[12:13], v[12:13], v[16:17] neg_lo:[0,1] neg_hi:[0,1]
	v_xor_b32_e32 v16, 0x80000000, v15
	v_mov_b32_e32 v17, v14
	v_pk_mul_f32 v[16:17], v[8:9], v[16:17] op_sel_hi:[0,1]
	v_pk_fma_f32 v[14:15], v[14:15], v[28:29], v[16:17] op_sel_hi:[1,0,1]
	v_xor_b32_e32 v16, 0x80000000, v19
	v_mov_b32_e32 v17, v18
	v_pk_mul_f32 v[16:17], v[26:27], v[16:17] op_sel_hi:[0,1]
	v_pk_add_f32 v[12:13], v[12:13], v[14:15] neg_lo:[0,1] neg_hi:[0,1]
	s_waitcnt lgkmcnt(0)
	v_pk_add_f32 v[14:15], v[20:21], 0 neg_lo:[1,1] neg_hi:[1,1]
	v_pk_fma_f32 v[16:17], v[18:19], v[24:25], v[16:17] op_sel_hi:[1,0,1]
	v_pk_mov_b32 v[14:15], v[20:21], v[14:15] op_sel:[1,0]
	v_pk_add_f32 v[10:11], v[10:11], v[16:17] neg_lo:[0,1] neg_hi:[0,1]
	v_xor_b32_e32 v16, 0x80000000, v23
	v_mov_b32_e32 v17, v22
	v_pk_mul_f32 v[14:15], v[8:9], v[14:15] op_sel_hi:[0,1]
	v_pk_mul_f32 v[8:9], v[8:9], v[16:17] op_sel_hi:[0,1]
	v_pk_fma_f32 v[8:9], v[22:23], v[28:29], v[8:9] op_sel_hi:[1,0,1]
	v_lshlrev_b32_e32 v5, 3, v5
	v_pk_add_f32 v[8:9], v[10:11], v[8:9] neg_lo:[0,1] neg_hi:[0,1]
	v_pk_fma_f32 v[14:15], v[20:21], v[28:29], v[14:15] op_sel_hi:[1,0,1] neg_lo:[1,0,0] neg_hi:[1,0,0]
	; wave barrier
	ds_write2_b64 v1, v[6:7], v[12:13] offset1:66
	ds_write2_b64 v4, v[14:15], v[8:9] offset0:4 offset1:136
	s_waitcnt lgkmcnt(0)
	; wave barrier
	ds_read2_b64 v[6:9], v5 offset1:66
	v_min_u32_e32 v17, 47, v0
	ds_read2_b64 v[10:13], v1 offset1:66
	v_add_u32_e32 v5, 0x400, v5
	s_waitcnt lgkmcnt(1)
	v_mul_f32_e32 v14, v9, v9
	v_fmac_f32_e32 v14, v8, v8
	v_div_scale_f32 v15, s[0:1], v14, v14, 1.0
	v_rcp_f32_e32 v16, v15
	v_pk_add_f32 v[30:31], v[6:7], 0 neg_lo:[1,1] neg_hi:[1,1]
	v_fma_f32 v18, -v15, v16, 1.0
	v_fmac_f32_e32 v16, v18, v16
	v_div_scale_f32 v18, vcc, 1.0, v14, 1.0
	v_mul_f32_e32 v19, v18, v16
	v_fma_f32 v20, -v15, v19, v18
	v_fmac_f32_e32 v19, v20, v16
	v_fma_f32 v15, -v15, v19, v18
	v_div_fmas_f32 v15, v15, v16, v19
	v_lshlrev_b32_e32 v20, 3, v17
	v_div_fixup_f32 v18, v15, v14, 1.0
	ds_read2_b64 v[14:17], v20 offset0:16 offset1:82
	s_waitcnt lgkmcnt(1)
	v_mul_f32_e32 v19, v9, v11
	v_fmac_f32_e32 v19, v10, v8
	v_mul_f32_e32 v24, v18, v19
	v_mul_f32_e64 v9, v9, -v10
	s_waitcnt lgkmcnt(0)
	v_mul_f32_e32 v19, v17, v17
	v_fmac_f32_e32 v19, v16, v16
	v_div_scale_f32 v21, s[0:1], v19, v19, 1.0
	v_rcp_f32_e32 v22, v21
	v_fmac_f32_e32 v9, v11, v8
	v_mul_f32_e32 v26, v9, v18
	ds_read2_b64 v[8:11], v4 offset0:4 offset1:136
	v_fma_f32 v18, -v21, v22, 1.0
	v_fmac_f32_e32 v22, v18, v22
	v_div_scale_f32 v18, vcc, 1.0, v19, 1.0
	v_mul_f32_e32 v23, v18, v22
	v_fma_f32 v25, -v21, v23, v18
	v_fmac_f32_e32 v23, v25, v22
	v_fma_f32 v18, -v21, v23, v18
	v_div_fmas_f32 v18, v18, v22, v23
	v_div_fixup_f32 v18, v18, v19, 1.0
	s_waitcnt lgkmcnt(0)
	v_mul_f32_e32 v19, v17, v9
	v_fmac_f32_e32 v19, v8, v16
	v_mul_f32_e64 v8, v17, -v8
	v_fmac_f32_e32 v8, v9, v16
	v_mul_f32_e32 v28, v18, v19
	v_mul_f32_e32 v8, v8, v18
	ds_read2_b64 v[16:19], v5 offset0:4 offset1:136
	v_pk_mov_b32 v[30:31], v[6:7], v[30:31] op_sel:[1,0]
	v_add_u32_e32 v5, 0x400, v20
	v_pk_mul_f32 v[30:31], v[26:27], v[30:31] op_sel_hi:[0,1]
	v_pk_fma_f32 v[6:7], v[6:7], v[24:25], v[30:31] op_sel_hi:[1,0,1] neg_lo:[1,0,0] neg_hi:[1,0,0]
	s_waitcnt lgkmcnt(0)
	v_xor_b32_e32 v30, 0x80000000, v17
	v_mov_b32_e32 v31, v16
	v_pk_mul_f32 v[30:31], v[26:27], v[30:31] op_sel_hi:[0,1]
	ds_read2_b64 v[20:23], v5 offset0:20 offset1:152
	v_pk_fma_f32 v[16:17], v[16:17], v[24:25], v[30:31] op_sel_hi:[1,0,1]
	v_cmp_gt_u32_e32 vcc, 32, v0
	v_pk_add_f32 v[12:13], v[12:13], v[16:17] neg_lo:[0,1] neg_hi:[0,1]
	v_xor_b32_e32 v16, 0x80000000, v15
	v_mov_b32_e32 v17, v14
	v_pk_mul_f32 v[16:17], v[8:9], v[16:17] op_sel_hi:[0,1]
	v_pk_fma_f32 v[14:15], v[14:15], v[28:29], v[16:17] op_sel_hi:[1,0,1]
	v_xor_b32_e32 v16, 0x80000000, v19
	v_mov_b32_e32 v17, v18
	v_pk_mul_f32 v[16:17], v[26:27], v[16:17] op_sel_hi:[0,1]
	v_pk_add_f32 v[12:13], v[12:13], v[14:15] neg_lo:[0,1] neg_hi:[0,1]
	s_waitcnt lgkmcnt(0)
	v_pk_add_f32 v[14:15], v[20:21], 0 neg_lo:[1,1] neg_hi:[1,1]
	v_pk_fma_f32 v[16:17], v[18:19], v[24:25], v[16:17] op_sel_hi:[1,0,1]
	v_pk_mov_b32 v[14:15], v[20:21], v[14:15] op_sel:[1,0]
	v_pk_add_f32 v[10:11], v[10:11], v[16:17] neg_lo:[0,1] neg_hi:[0,1]
	v_xor_b32_e32 v16, 0x80000000, v23
	v_mov_b32_e32 v17, v22
	v_pk_mul_f32 v[14:15], v[8:9], v[14:15] op_sel_hi:[0,1]
	v_pk_mul_f32 v[8:9], v[8:9], v[16:17] op_sel_hi:[0,1]
	v_pk_fma_f32 v[8:9], v[22:23], v[28:29], v[8:9] op_sel_hi:[1,0,1]
	v_pk_fma_f32 v[14:15], v[20:21], v[28:29], v[14:15] op_sel_hi:[1,0,1] neg_lo:[1,0,0] neg_hi:[1,0,0]
	; wave barrier
	v_pk_add_f32 v[8:9], v[10:11], v[8:9] neg_lo:[0,1] neg_hi:[0,1]
	ds_write2_b64 v1, v[6:7], v[12:13] offset1:66
	ds_write2_b64 v4, v[14:15], v[8:9] offset0:4 offset1:136
	s_waitcnt lgkmcnt(0)
	; wave barrier
	s_and_saveexec_b64 s[0:1], vcc
	s_cbranch_execz .LBB47_2
; %bb.1:
	v_add_u32_e32 v0, 0x210, v1
	v_add_u32_e32 v8, 0x420, v1
	v_add_u32_e32 v23, 0x840, v1
	ds_read2_b64 v[4:7], v0 offset1:32
	ds_read_b64 v[8:9], v8
	ds_read_b32 v0, v23
	ds_read_b64 v[10:11], v23
	ds_read_b64 v[12:13], v1 offset:256
	s_waitcnt lgkmcnt(4)
	v_xor_b32_e32 v14, 0x80000000, v7
	s_waitcnt lgkmcnt(3)
	v_xor_b32_e32 v16, 0x80000000, v9
	v_mov_b32_e32 v15, v6
	v_mov_b32_e32 v17, v8
	v_pk_mul_f32 v[18:19], v[4:5], v[14:15] op_sel:[1,0]
	s_waitcnt lgkmcnt(0)
	v_pk_mul_f32 v[20:21], v[12:13], v[16:17] op_sel:[1,0]
	v_pk_fma_f32 v[18:19], v[6:7], v[4:5], v[18:19] op_sel_hi:[1,0,1]
	v_pk_fma_f32 v[20:21], v[8:9], v[12:13], v[20:21] op_sel_hi:[1,0,1]
	s_nop 0
	v_pk_add_f32 v[18:19], v[18:19], v[20:21] neg_lo:[0,1] neg_hi:[0,1]
	ds_read2_b32 v[20:21], v23 offset0:1 offset1:64
	ds_read_b32 v22, v23 offset:260
	v_mul_f32_e32 v24, v19, v19
	v_fmac_f32_e32 v24, v18, v18
	v_div_scale_f32 v25, s[2:3], v24, v24, 1.0
	v_rcp_f32_e32 v26, v25
	s_waitcnt lgkmcnt(1)
	v_pk_mul_f32 v[14:15], v[20:21], v[14:15] op_sel_hi:[0,1]
	v_pk_fma_f32 v[6:7], v[6:7], v[0:1], v[14:15] op_sel_hi:[1,0,1]
	ds_read_b64 v[14:15], v23 offset:256
	v_fma_f32 v27, -v25, v26, 1.0
	v_fmac_f32_e32 v26, v27, v26
	v_div_scale_f32 v27, vcc, 1.0, v24, 1.0
	v_mul_f32_e32 v28, v27, v26
	v_fma_f32 v29, -v25, v28, v27
	v_fmac_f32_e32 v28, v29, v26
	v_fma_f32 v25, -v25, v28, v27
	s_waitcnt lgkmcnt(1)
	v_pk_mul_f32 v[16:17], v[22:23], v[16:17] op_sel_hi:[0,1]
	v_mov_b32_e32 v0, v21
	v_div_fmas_f32 v25, v25, v26, v28
	v_pk_fma_f32 v[8:9], v[8:9], v[0:1], v[16:17] op_sel_hi:[1,0,1]
	v_div_fixup_f32 v25, v25, v24, 1.0
	v_fma_f32 v24, 0, v19, v18
	v_fma_f32 v18, v18, 0, -v19
	v_pk_add_f32 v[6:7], v[6:7], v[8:9] neg_lo:[0,1] neg_hi:[0,1]
	v_mul_f32_e32 v18, v18, v25
	v_xor_b32_e32 v8, 0x80000000, v7
	v_mov_b32_e32 v9, v6
	v_mul_f32_e32 v24, v24, v25
	v_pk_mul_f32 v[8:9], v[18:19], v[8:9] op_sel_hi:[0,1]
	v_pk_fma_f32 v[6:7], v[6:7], v[24:25], v[8:9] op_sel_hi:[1,0,1]
	s_waitcnt lgkmcnt(0)
	v_xor_b32_e32 v8, 0x80000000, v15
	v_mov_b32_e32 v9, v14
	v_pk_mul_f32 v[8:9], v[4:5], v[8:9] op_sel:[1,0]
	s_nop 0
	v_pk_fma_f32 v[4:5], v[14:15], v[4:5], v[8:9] op_sel_hi:[1,0,1]
	v_xor_b32_e32 v8, 0x80000000, v11
	v_mov_b32_e32 v9, v10
	v_pk_mul_f32 v[8:9], v[12:13], v[8:9] op_sel:[1,0]
	s_nop 0
	v_pk_fma_f32 v[8:9], v[10:11], v[12:13], v[8:9] op_sel_hi:[1,0,1]
	s_nop 0
	v_pk_add_f32 v[4:5], v[4:5], v[8:9] neg_lo:[0,1] neg_hi:[0,1]
	s_nop 0
	v_xor_b32_e32 v8, 0x80000000, v5
	v_mov_b32_e32 v9, v4
	v_pk_mul_f32 v[8:9], v[18:19], v[8:9] op_sel_hi:[0,1]
	v_pk_fma_f32 v[4:5], v[4:5], v[24:25], v[8:9] op_sel_hi:[1,0,1]
	ds_write2_b64 v1, v[6:7], v[4:5] offset0:198 offset1:230
.LBB47_2:
	s_or_b64 exec, exec, s[0:1]
	s_waitcnt lgkmcnt(0)
	; wave barrier
	ds_read_b64 v[0:1], v1 offset:1584
	s_waitcnt lgkmcnt(0)
	global_store_dwordx2 v[2:3], v[0:1], off
	s_endpgm
	.section	.rodata,"a",@progbits
	.p2align	6, 0x0
	.amdhsa_kernel _ZN9rocsparseL49gtsv_nopivot_strided_batch_pcr_pow2_shared_kernelILj64E21rocsparse_complex_numIfEEEviiiPKT0_S5_S5_PS3_
		.amdhsa_group_segment_fixed_size 2632
		.amdhsa_private_segment_fixed_size 0
		.amdhsa_kernarg_size 48
		.amdhsa_user_sgpr_count 2
		.amdhsa_user_sgpr_dispatch_ptr 0
		.amdhsa_user_sgpr_queue_ptr 0
		.amdhsa_user_sgpr_kernarg_segment_ptr 1
		.amdhsa_user_sgpr_dispatch_id 0
		.amdhsa_user_sgpr_kernarg_preload_length 0
		.amdhsa_user_sgpr_kernarg_preload_offset 0
		.amdhsa_user_sgpr_private_segment_size 0
		.amdhsa_uses_dynamic_stack 0
		.amdhsa_enable_private_segment 0
		.amdhsa_system_sgpr_workgroup_id_x 1
		.amdhsa_system_sgpr_workgroup_id_y 0
		.amdhsa_system_sgpr_workgroup_id_z 0
		.amdhsa_system_sgpr_workgroup_info 0
		.amdhsa_system_vgpr_workitem_id 0
		.amdhsa_next_free_vgpr 50
		.amdhsa_next_free_sgpr 12
		.amdhsa_accum_offset 52
		.amdhsa_reserve_vcc 1
		.amdhsa_float_round_mode_32 0
		.amdhsa_float_round_mode_16_64 0
		.amdhsa_float_denorm_mode_32 3
		.amdhsa_float_denorm_mode_16_64 3
		.amdhsa_dx10_clamp 1
		.amdhsa_ieee_mode 1
		.amdhsa_fp16_overflow 0
		.amdhsa_tg_split 0
		.amdhsa_exception_fp_ieee_invalid_op 0
		.amdhsa_exception_fp_denorm_src 0
		.amdhsa_exception_fp_ieee_div_zero 0
		.amdhsa_exception_fp_ieee_overflow 0
		.amdhsa_exception_fp_ieee_underflow 0
		.amdhsa_exception_fp_ieee_inexact 0
		.amdhsa_exception_int_div_zero 0
	.end_amdhsa_kernel
	.section	.text._ZN9rocsparseL49gtsv_nopivot_strided_batch_pcr_pow2_shared_kernelILj64E21rocsparse_complex_numIfEEEviiiPKT0_S5_S5_PS3_,"axG",@progbits,_ZN9rocsparseL49gtsv_nopivot_strided_batch_pcr_pow2_shared_kernelILj64E21rocsparse_complex_numIfEEEviiiPKT0_S5_S5_PS3_,comdat
.Lfunc_end47:
	.size	_ZN9rocsparseL49gtsv_nopivot_strided_batch_pcr_pow2_shared_kernelILj64E21rocsparse_complex_numIfEEEviiiPKT0_S5_S5_PS3_, .Lfunc_end47-_ZN9rocsparseL49gtsv_nopivot_strided_batch_pcr_pow2_shared_kernelILj64E21rocsparse_complex_numIfEEEviiiPKT0_S5_S5_PS3_
                                        ; -- End function
	.set _ZN9rocsparseL49gtsv_nopivot_strided_batch_pcr_pow2_shared_kernelILj64E21rocsparse_complex_numIfEEEviiiPKT0_S5_S5_PS3_.num_vgpr, 50
	.set _ZN9rocsparseL49gtsv_nopivot_strided_batch_pcr_pow2_shared_kernelILj64E21rocsparse_complex_numIfEEEviiiPKT0_S5_S5_PS3_.num_agpr, 0
	.set _ZN9rocsparseL49gtsv_nopivot_strided_batch_pcr_pow2_shared_kernelILj64E21rocsparse_complex_numIfEEEviiiPKT0_S5_S5_PS3_.numbered_sgpr, 12
	.set _ZN9rocsparseL49gtsv_nopivot_strided_batch_pcr_pow2_shared_kernelILj64E21rocsparse_complex_numIfEEEviiiPKT0_S5_S5_PS3_.num_named_barrier, 0
	.set _ZN9rocsparseL49gtsv_nopivot_strided_batch_pcr_pow2_shared_kernelILj64E21rocsparse_complex_numIfEEEviiiPKT0_S5_S5_PS3_.private_seg_size, 0
	.set _ZN9rocsparseL49gtsv_nopivot_strided_batch_pcr_pow2_shared_kernelILj64E21rocsparse_complex_numIfEEEviiiPKT0_S5_S5_PS3_.uses_vcc, 1
	.set _ZN9rocsparseL49gtsv_nopivot_strided_batch_pcr_pow2_shared_kernelILj64E21rocsparse_complex_numIfEEEviiiPKT0_S5_S5_PS3_.uses_flat_scratch, 0
	.set _ZN9rocsparseL49gtsv_nopivot_strided_batch_pcr_pow2_shared_kernelILj64E21rocsparse_complex_numIfEEEviiiPKT0_S5_S5_PS3_.has_dyn_sized_stack, 0
	.set _ZN9rocsparseL49gtsv_nopivot_strided_batch_pcr_pow2_shared_kernelILj64E21rocsparse_complex_numIfEEEviiiPKT0_S5_S5_PS3_.has_recursion, 0
	.set _ZN9rocsparseL49gtsv_nopivot_strided_batch_pcr_pow2_shared_kernelILj64E21rocsparse_complex_numIfEEEviiiPKT0_S5_S5_PS3_.has_indirect_call, 0
	.section	.AMDGPU.csdata,"",@progbits
; Kernel info:
; codeLenInByte = 3412
; TotalNumSgprs: 18
; NumVgprs: 50
; NumAgprs: 0
; TotalNumVgprs: 50
; ScratchSize: 0
; MemoryBound: 0
; FloatMode: 240
; IeeeMode: 1
; LDSByteSize: 2632 bytes/workgroup (compile time only)
; SGPRBlocks: 2
; VGPRBlocks: 6
; NumSGPRsForWavesPerEU: 18
; NumVGPRsForWavesPerEU: 50
; AccumOffset: 52
; Occupancy: 8
; WaveLimiterHint : 0
; COMPUTE_PGM_RSRC2:SCRATCH_EN: 0
; COMPUTE_PGM_RSRC2:USER_SGPR: 2
; COMPUTE_PGM_RSRC2:TRAP_HANDLER: 0
; COMPUTE_PGM_RSRC2:TGID_X_EN: 1
; COMPUTE_PGM_RSRC2:TGID_Y_EN: 0
; COMPUTE_PGM_RSRC2:TGID_Z_EN: 0
; COMPUTE_PGM_RSRC2:TIDIG_COMP_CNT: 0
; COMPUTE_PGM_RSRC3_GFX90A:ACCUM_OFFSET: 12
; COMPUTE_PGM_RSRC3_GFX90A:TG_SPLIT: 0
	.section	.text._ZN9rocsparseL51gtsv_nopivot_strided_batch_crpcr_pow2_shared_kernelILj64ELj64E21rocsparse_complex_numIfEEEviiiPKT1_S5_S5_PS3_,"axG",@progbits,_ZN9rocsparseL51gtsv_nopivot_strided_batch_crpcr_pow2_shared_kernelILj64ELj64E21rocsparse_complex_numIfEEEviiiPKT1_S5_S5_PS3_,comdat
	.globl	_ZN9rocsparseL51gtsv_nopivot_strided_batch_crpcr_pow2_shared_kernelILj64ELj64E21rocsparse_complex_numIfEEEviiiPKT1_S5_S5_PS3_ ; -- Begin function _ZN9rocsparseL51gtsv_nopivot_strided_batch_crpcr_pow2_shared_kernelILj64ELj64E21rocsparse_complex_numIfEEEviiiPKT1_S5_S5_PS3_
	.p2align	8
	.type	_ZN9rocsparseL51gtsv_nopivot_strided_batch_crpcr_pow2_shared_kernelILj64ELj64E21rocsparse_complex_numIfEEEviiiPKT1_S5_S5_PS3_,@function
_ZN9rocsparseL51gtsv_nopivot_strided_batch_crpcr_pow2_shared_kernelILj64ELj64E21rocsparse_complex_numIfEEEviiiPKT1_S5_S5_PS3_: ; @_ZN9rocsparseL51gtsv_nopivot_strided_batch_crpcr_pow2_shared_kernelILj64ELj64E21rocsparse_complex_numIfEEEviiiPKT1_S5_S5_PS3_
; %bb.0:
	s_load_dword s3, s[0:1], 0x8
	s_load_dwordx8 s[4:11], s[0:1], 0x10
	v_mov_b32_e32 v5, 0
	v_lshlrev_b32_e32 v1, 3, v0
	v_cmp_gt_u32_e64 s[0:1], 64, v0
	s_waitcnt lgkmcnt(0)
	s_mul_i32 s3, s3, s2
	v_add_u32_e32 v2, s3, v0
	v_ashrrev_i32_e32 v3, 31, v2
	v_add_u32_e32 v4, 64, v2
	v_lshlrev_b64 v[2:3], 3, v[2:3]
	v_lshlrev_b64 v[4:5], 3, v[4:5]
	v_lshl_add_u64 v[6:7], s[4:5], 0, v[2:3]
	v_lshl_add_u64 v[8:9], s[4:5], 0, v[4:5]
	global_load_dwordx2 v[10:11], v[6:7], off
	global_load_dwordx2 v[12:13], v[8:9], off
	v_lshl_add_u64 v[6:7], s[6:7], 0, v[2:3]
	v_lshl_add_u64 v[8:9], s[6:7], 0, v[4:5]
	global_load_dwordx2 v[14:15], v[6:7], off
	global_load_dwordx2 v[16:17], v[8:9], off
	v_lshl_add_u64 v[6:7], s[8:9], 0, v[2:3]
	v_lshl_add_u64 v[8:9], s[8:9], 0, v[4:5]
	;; [unrolled: 1-line block ×3, first 2 shown]
	global_load_dwordx2 v[18:19], v[6:7], off
	global_load_dwordx2 v[20:21], v[8:9], off
	v_lshl_add_u64 v[4:5], s[10:11], 0, v[4:5]
	global_load_dwordx2 v[6:7], v[2:3], off
	global_load_dwordx2 v[8:9], v[4:5], off
	v_cmp_lt_u32_e32 vcc, 63, v0
	s_waitcnt vmcnt(6)
	ds_write2st64_b64 v1, v[10:11], v[12:13] offset1:1
	s_waitcnt vmcnt(4)
	ds_write2st64_b64 v1, v[14:15], v[16:17] offset0:2 offset1:3
	s_waitcnt vmcnt(2)
	ds_write2st64_b64 v1, v[18:19], v[20:21] offset0:4 offset1:5
	;; [unrolled: 2-line block ×3, first 2 shown]
	s_waitcnt lgkmcnt(0)
	; wave barrier
	s_and_saveexec_b64 s[2:3], vcc
	s_xor_b64 s[2:3], exec, s[2:3]
	s_or_saveexec_b64 s[2:3], s[2:3]
	v_or_b32_e32 v10, 0x400, v1
	v_or_b32_e32 v9, 0x800, v1
	;; [unrolled: 1-line block ×3, first 2 shown]
	v_lshlrev_b32_e32 v6, 1, v0
	s_xor_b64 exec, exec, s[2:3]
	s_cbranch_execz .LBB48_2
; %bb.1:
	v_add_u32_e32 v7, v10, v1
	ds_read_b128 v[12:15], v7
	v_min_u32_e32 v11, 0x7d, v6
	v_add_u32_e32 v29, v1, v1
	ds_read2_b64 v[16:19], v29 offset1:1
	v_lshlrev_b32_e32 v11, 3, v11
	s_waitcnt lgkmcnt(1)
	v_mul_f32_e32 v20, v13, v13
	v_fmac_f32_e32 v20, v12, v12
	v_div_scale_f32 v21, s[4:5], v20, v20, 1.0
	v_rcp_f32_e32 v22, v21
	v_div_scale_f32 v23, vcc, 1.0, v20, 1.0
	v_add_u32_e32 v31, v9, v1
	v_fma_f32 v24, -v21, v22, 1.0
	v_fmac_f32_e32 v22, v24, v22
	v_mul_f32_e32 v24, v23, v22
	v_fma_f32 v25, -v21, v24, v23
	v_fmac_f32_e32 v24, v25, v22
	v_fma_f32 v21, -v21, v24, v23
	v_div_fmas_f32 v21, v21, v22, v24
	v_div_fixup_f32 v24, v21, v20, 1.0
	ds_read2_b64 v[20:23], v11 offset0:2 offset1:130
	s_waitcnt lgkmcnt(1)
	v_mul_f32_e32 v25, v13, v19
	v_mul_f32_e64 v13, v13, -v18
	v_fmac_f32_e32 v25, v18, v12
	v_fmac_f32_e32 v13, v19, v12
	s_waitcnt lgkmcnt(0)
	v_mul_f32_e32 v12, v23, v23
	v_fmac_f32_e32 v12, v22, v22
	v_div_scale_f32 v18, s[4:5], v12, v12, 1.0
	v_rcp_f32_e32 v19, v18
	v_mul_f32_e32 v30, v13, v24
	v_mul_f32_e32 v28, v24, v25
	ds_read2_b64 v[24:27], v31 offset1:1
	v_fma_f32 v13, -v18, v19, 1.0
	v_fmac_f32_e32 v19, v13, v19
	v_div_scale_f32 v13, vcc, 1.0, v12, 1.0
	v_mul_f32_e32 v32, v13, v19
	v_fma_f32 v33, -v18, v32, v13
	v_fmac_f32_e32 v32, v33, v19
	v_fma_f32 v13, -v18, v32, v13
	v_div_fmas_f32 v13, v13, v19, v32
	v_div_fixup_f32 v12, v13, v12, 1.0
	s_waitcnt lgkmcnt(0)
	v_mul_f32_e32 v13, v23, v27
	v_fmac_f32_e32 v13, v26, v22
	v_mul_f32_e32 v32, v12, v13
	v_mul_f32_e64 v13, v23, -v26
	v_fmac_f32_e32 v13, v27, v22
	v_mul_f32_e32 v22, v13, v12
	v_xor_b32_e32 v12, 0x80000000, v25
	v_mov_b32_e32 v13, v24
	v_pk_mul_f32 v[12:13], v[30:31], v[12:13] op_sel_hi:[0,1]
	v_pk_fma_f32 v[12:13], v[24:25], v[28:29], v[12:13] op_sel_hi:[1,0,1]
	v_add_u32_e32 v11, 16, v11
	v_pk_add_f32 v[18:19], v[14:15], v[12:13] neg_lo:[0,1] neg_hi:[0,1]
	v_xor_b32_e32 v12, 0x80000000, v21
	v_mov_b32_e32 v13, v20
	v_pk_mul_f32 v[12:13], v[22:23], v[12:13] op_sel_hi:[0,1]
	v_add_u32_e32 v23, v8, v1
	v_pk_fma_f32 v[20:21], v[20:21], v[32:33], v[12:13] op_sel_hi:[1,0,1]
	ds_read_b128 v[12:15], v23
	v_pk_add_f32 v[24:25], v[18:19], v[20:21] neg_lo:[0,1] neg_hi:[0,1]
	ds_read2st64_b64 v[18:21], v11 offset0:4 offset1:8
	ds_write_b64 v7, v[24:25] offset:8
	s_waitcnt lgkmcnt(2)
	v_pk_mul_f32 v[24:25], v[30:31], v[12:13] op_sel:[0,1] op_sel_hi:[0,0] neg_lo:[0,1]
	v_pk_fma_f32 v[12:13], v[12:13], v[28:29], v[24:25] op_sel_hi:[1,0,1]
	s_nop 0
	v_pk_add_f32 v[12:13], v[14:15], v[12:13] neg_lo:[0,1] neg_hi:[0,1]
	s_waitcnt lgkmcnt(1)
	v_xor_b32_e32 v14, 0x80000000, v21
	v_mov_b32_e32 v15, v20
	v_pk_mul_f32 v[14:15], v[22:23], v[14:15] op_sel_hi:[0,1]
	v_pk_fma_f32 v[14:15], v[20:21], v[32:33], v[14:15] op_sel_hi:[1,0,1]
	s_nop 0
	v_pk_add_f32 v[12:13], v[12:13], v[14:15] neg_lo:[0,1] neg_hi:[0,1]
	ds_write_b64 v23, v[12:13] offset:8
	v_pk_add_f32 v[12:13], v[16:17], 0 neg_lo:[1,1] neg_hi:[1,1]
	s_nop 0
	v_pk_mov_b32 v[12:13], v[16:17], v[12:13] op_sel:[1,0]
	s_nop 0
	v_pk_mul_f32 v[12:13], v[30:31], v[12:13] op_sel_hi:[0,1]
	v_pk_fma_f32 v[12:13], v[16:17], v[28:29], v[12:13] op_sel_hi:[1,0,1] neg_lo:[1,0,0] neg_hi:[1,0,0]
	ds_write_b64 v29, v[12:13] offset:8
	v_pk_add_f32 v[12:13], v[18:19], 0 neg_lo:[1,1] neg_hi:[1,1]
	s_nop 0
	v_pk_mov_b32 v[12:13], v[18:19], v[12:13] op_sel:[1,0]
	s_nop 0
	v_pk_mul_f32 v[12:13], v[22:23], v[12:13] op_sel_hi:[0,1]
	v_pk_fma_f32 v[12:13], v[18:19], v[32:33], v[12:13] op_sel_hi:[1,0,1] neg_lo:[1,0,0] neg_hi:[1,0,0]
	ds_write_b64 v31, v[12:13] offset:8
.LBB48_2:
	s_or_b64 exec, exec, s[2:3]
	v_lshlrev_b32_e32 v7, 3, v6
	v_add_u32_e32 v12, v10, v1
	s_waitcnt lgkmcnt(0)
	; wave barrier
	v_add_u32_e32 v9, v9, v1
	v_add_u32_e32 v8, v8, v1
	ds_read_b64 v[10:11], v7 offset:8
	ds_read_b64 v[12:13], v12 offset:8
	;; [unrolled: 1-line block ×4, first 2 shown]
	v_sub_u32_e64 v9, v0, 1 clamp
	v_lshlrev_b32_e32 v8, 3, v0
	v_lshlrev_b32_e32 v9, 3, v9
	s_waitcnt lgkmcnt(2)
	ds_write2st64_b64 v8, v[10:11], v[12:13] offset0:10 offset1:11
	s_waitcnt lgkmcnt(1)
	ds_write2st64_b64 v8, v[14:15], v[16:17] offset0:12 offset1:14
	s_waitcnt lgkmcnt(0)
	; wave barrier
	ds_read2st64_b64 v[10:13], v9 offset0:10 offset1:11
	v_min_u32_e32 v21, 62, v0
	ds_read2st64_b64 v[14:17], v8 offset0:10 offset1:11
	s_waitcnt lgkmcnt(1)
	v_mul_f32_e32 v18, v13, v13
	v_fmac_f32_e32 v18, v12, v12
	v_div_scale_f32 v19, s[2:3], v18, v18, 1.0
	v_rcp_f32_e32 v20, v19
	v_pk_add_f32 v[34:35], v[10:11], 0 neg_lo:[1,1] neg_hi:[1,1]
	v_fma_f32 v22, -v19, v20, 1.0
	v_fmac_f32_e32 v20, v22, v20
	v_div_scale_f32 v22, vcc, 1.0, v18, 1.0
	v_mul_f32_e32 v23, v22, v20
	v_fma_f32 v24, -v19, v23, v22
	v_fmac_f32_e32 v23, v24, v20
	v_fma_f32 v19, -v19, v23, v22
	v_div_fmas_f32 v19, v19, v20, v23
	v_div_fixup_f32 v22, v19, v18, 1.0
	v_lshlrev_b32_e32 v18, 3, v21
	v_add_u32_e32 v24, 8, v18
	ds_read2st64_b64 v[18:21], v24 offset0:10 offset1:11
	s_waitcnt lgkmcnt(1)
	v_mul_f32_e32 v23, v13, v15
	v_fmac_f32_e32 v23, v14, v12
	v_mul_f32_e32 v28, v22, v23
	v_mul_f32_e64 v13, v13, -v14
	s_waitcnt lgkmcnt(0)
	v_mul_f32_e32 v23, v21, v21
	v_fmac_f32_e32 v23, v20, v20
	v_div_scale_f32 v25, s[2:3], v23, v23, 1.0
	v_rcp_f32_e32 v26, v25
	v_fmac_f32_e32 v13, v15, v12
	v_mul_f32_e32 v30, v13, v22
	ds_read2st64_b64 v[12:15], v8 offset0:12 offset1:14
	v_fma_f32 v22, -v25, v26, 1.0
	v_fmac_f32_e32 v26, v22, v26
	v_div_scale_f32 v22, vcc, 1.0, v23, 1.0
	v_mul_f32_e32 v27, v22, v26
	v_fma_f32 v29, -v25, v27, v22
	v_fmac_f32_e32 v27, v29, v26
	v_fma_f32 v22, -v25, v27, v22
	v_div_fmas_f32 v22, v22, v26, v27
	v_div_fixup_f32 v22, v22, v23, 1.0
	s_waitcnt lgkmcnt(0)
	v_mul_f32_e32 v23, v21, v13
	v_fmac_f32_e32 v23, v12, v20
	v_mul_f32_e64 v12, v21, -v12
	v_fmac_f32_e32 v12, v13, v20
	v_mul_f32_e32 v32, v22, v23
	v_mul_f32_e32 v12, v12, v22
	ds_read2st64_b64 v[20:23], v9 offset0:12 offset1:14
	ds_read2st64_b64 v[24:27], v24 offset0:12 offset1:14
	v_pk_mov_b32 v[34:35], v[10:11], v[34:35] op_sel:[1,0]
	v_sub_u32_e64 v9, v0, 2 clamp
	v_pk_mul_f32 v[34:35], v[30:31], v[34:35] op_sel_hi:[0,1]
	v_pk_fma_f32 v[10:11], v[10:11], v[28:29], v[34:35] op_sel_hi:[1,0,1] neg_lo:[1,0,0] neg_hi:[1,0,0]
	s_waitcnt lgkmcnt(1)
	v_xor_b32_e32 v34, 0x80000000, v21
	v_mov_b32_e32 v35, v20
	v_pk_mul_f32 v[34:35], v[30:31], v[34:35] op_sel_hi:[0,1]
	v_pk_fma_f32 v[20:21], v[20:21], v[28:29], v[34:35] op_sel_hi:[1,0,1]
	v_lshlrev_b32_e32 v9, 3, v9
	v_pk_add_f32 v[16:17], v[16:17], v[20:21] neg_lo:[0,1] neg_hi:[0,1]
	v_xor_b32_e32 v20, 0x80000000, v19
	v_mov_b32_e32 v21, v18
	v_pk_mul_f32 v[20:21], v[12:13], v[20:21] op_sel_hi:[0,1]
	v_pk_fma_f32 v[18:19], v[18:19], v[32:33], v[20:21] op_sel_hi:[1,0,1]
	v_xor_b32_e32 v20, 0x80000000, v23
	v_mov_b32_e32 v21, v22
	v_pk_mul_f32 v[20:21], v[30:31], v[20:21] op_sel_hi:[0,1]
	v_pk_add_f32 v[16:17], v[16:17], v[18:19] neg_lo:[0,1] neg_hi:[0,1]
	s_waitcnt lgkmcnt(0)
	v_pk_add_f32 v[18:19], v[24:25], 0 neg_lo:[1,1] neg_hi:[1,1]
	v_pk_fma_f32 v[20:21], v[22:23], v[28:29], v[20:21] op_sel_hi:[1,0,1]
	v_pk_mov_b32 v[18:19], v[24:25], v[18:19] op_sel:[1,0]
	v_pk_add_f32 v[14:15], v[14:15], v[20:21] neg_lo:[0,1] neg_hi:[0,1]
	v_xor_b32_e32 v20, 0x80000000, v27
	v_mov_b32_e32 v21, v26
	v_pk_mul_f32 v[18:19], v[12:13], v[18:19] op_sel_hi:[0,1]
	v_pk_mul_f32 v[12:13], v[12:13], v[20:21] op_sel_hi:[0,1]
	v_pk_fma_f32 v[12:13], v[26:27], v[32:33], v[12:13] op_sel_hi:[1,0,1]
	v_pk_fma_f32 v[18:19], v[24:25], v[32:33], v[18:19] op_sel_hi:[1,0,1] neg_lo:[1,0,0] neg_hi:[1,0,0]
	v_pk_add_f32 v[12:13], v[14:15], v[12:13] neg_lo:[0,1] neg_hi:[0,1]
	; wave barrier
	ds_write2st64_b64 v8, v[10:11], v[16:17] offset0:10 offset1:11
	ds_write2st64_b64 v8, v[18:19], v[12:13] offset0:12 offset1:14
	s_waitcnt lgkmcnt(0)
	; wave barrier
	ds_read2st64_b64 v[10:13], v9 offset0:10 offset1:11
	v_min_u32_e32 v21, 61, v0
	ds_read2st64_b64 v[14:17], v8 offset0:10 offset1:11
	s_waitcnt lgkmcnt(1)
	v_mul_f32_e32 v18, v13, v13
	v_fmac_f32_e32 v18, v12, v12
	v_div_scale_f32 v19, s[2:3], v18, v18, 1.0
	v_rcp_f32_e32 v20, v19
	v_pk_add_f32 v[34:35], v[10:11], 0 neg_lo:[1,1] neg_hi:[1,1]
	v_fma_f32 v22, -v19, v20, 1.0
	v_fmac_f32_e32 v20, v22, v20
	v_div_scale_f32 v22, vcc, 1.0, v18, 1.0
	v_mul_f32_e32 v23, v22, v20
	v_fma_f32 v24, -v19, v23, v22
	v_fmac_f32_e32 v23, v24, v20
	v_fma_f32 v19, -v19, v23, v22
	v_div_fmas_f32 v19, v19, v20, v23
	v_div_fixup_f32 v22, v19, v18, 1.0
	v_lshlrev_b32_e32 v18, 3, v21
	v_add_u32_e32 v24, 16, v18
	ds_read2st64_b64 v[18:21], v24 offset0:10 offset1:11
	s_waitcnt lgkmcnt(1)
	v_mul_f32_e32 v23, v13, v15
	v_fmac_f32_e32 v23, v14, v12
	v_mul_f32_e32 v28, v22, v23
	v_mul_f32_e64 v13, v13, -v14
	s_waitcnt lgkmcnt(0)
	v_mul_f32_e32 v23, v21, v21
	v_fmac_f32_e32 v23, v20, v20
	v_div_scale_f32 v25, s[2:3], v23, v23, 1.0
	v_rcp_f32_e32 v26, v25
	v_fmac_f32_e32 v13, v15, v12
	v_mul_f32_e32 v30, v13, v22
	ds_read2st64_b64 v[12:15], v8 offset0:12 offset1:14
	v_fma_f32 v22, -v25, v26, 1.0
	v_fmac_f32_e32 v26, v22, v26
	v_div_scale_f32 v22, vcc, 1.0, v23, 1.0
	v_mul_f32_e32 v27, v22, v26
	v_fma_f32 v29, -v25, v27, v22
	v_fmac_f32_e32 v27, v29, v26
	v_fma_f32 v22, -v25, v27, v22
	v_div_fmas_f32 v22, v22, v26, v27
	v_div_fixup_f32 v22, v22, v23, 1.0
	s_waitcnt lgkmcnt(0)
	v_mul_f32_e32 v23, v21, v13
	v_fmac_f32_e32 v23, v12, v20
	v_mul_f32_e64 v12, v21, -v12
	v_fmac_f32_e32 v12, v13, v20
	v_mul_f32_e32 v32, v22, v23
	v_mul_f32_e32 v12, v12, v22
	ds_read2st64_b64 v[20:23], v9 offset0:12 offset1:14
	ds_read2st64_b64 v[24:27], v24 offset0:12 offset1:14
	v_pk_mov_b32 v[34:35], v[10:11], v[34:35] op_sel:[1,0]
	v_sub_u32_e64 v9, v0, 4 clamp
	v_pk_mul_f32 v[34:35], v[30:31], v[34:35] op_sel_hi:[0,1]
	v_pk_fma_f32 v[10:11], v[10:11], v[28:29], v[34:35] op_sel_hi:[1,0,1] neg_lo:[1,0,0] neg_hi:[1,0,0]
	s_waitcnt lgkmcnt(1)
	v_xor_b32_e32 v34, 0x80000000, v21
	v_mov_b32_e32 v35, v20
	v_pk_mul_f32 v[34:35], v[30:31], v[34:35] op_sel_hi:[0,1]
	v_pk_fma_f32 v[20:21], v[20:21], v[28:29], v[34:35] op_sel_hi:[1,0,1]
	v_lshlrev_b32_e32 v9, 3, v9
	v_pk_add_f32 v[16:17], v[16:17], v[20:21] neg_lo:[0,1] neg_hi:[0,1]
	v_xor_b32_e32 v20, 0x80000000, v19
	v_mov_b32_e32 v21, v18
	v_pk_mul_f32 v[20:21], v[12:13], v[20:21] op_sel_hi:[0,1]
	v_pk_fma_f32 v[18:19], v[18:19], v[32:33], v[20:21] op_sel_hi:[1,0,1]
	v_xor_b32_e32 v20, 0x80000000, v23
	v_mov_b32_e32 v21, v22
	v_pk_mul_f32 v[20:21], v[30:31], v[20:21] op_sel_hi:[0,1]
	v_pk_add_f32 v[16:17], v[16:17], v[18:19] neg_lo:[0,1] neg_hi:[0,1]
	s_waitcnt lgkmcnt(0)
	v_pk_add_f32 v[18:19], v[24:25], 0 neg_lo:[1,1] neg_hi:[1,1]
	v_pk_fma_f32 v[20:21], v[22:23], v[28:29], v[20:21] op_sel_hi:[1,0,1]
	v_pk_mov_b32 v[18:19], v[24:25], v[18:19] op_sel:[1,0]
	v_pk_add_f32 v[14:15], v[14:15], v[20:21] neg_lo:[0,1] neg_hi:[0,1]
	v_xor_b32_e32 v20, 0x80000000, v27
	v_mov_b32_e32 v21, v26
	v_pk_mul_f32 v[18:19], v[12:13], v[18:19] op_sel_hi:[0,1]
	v_pk_mul_f32 v[12:13], v[12:13], v[20:21] op_sel_hi:[0,1]
	v_pk_fma_f32 v[12:13], v[26:27], v[32:33], v[12:13] op_sel_hi:[1,0,1]
	v_pk_fma_f32 v[18:19], v[24:25], v[32:33], v[18:19] op_sel_hi:[1,0,1] neg_lo:[1,0,0] neg_hi:[1,0,0]
	v_pk_add_f32 v[12:13], v[14:15], v[12:13] neg_lo:[0,1] neg_hi:[0,1]
	; wave barrier
	ds_write2st64_b64 v8, v[10:11], v[16:17] offset0:10 offset1:11
	ds_write2st64_b64 v8, v[18:19], v[12:13] offset0:12 offset1:14
	s_waitcnt lgkmcnt(0)
	; wave barrier
	ds_read2st64_b64 v[10:13], v9 offset0:10 offset1:11
	v_min_u32_e32 v21, 59, v0
	ds_read2st64_b64 v[14:17], v8 offset0:10 offset1:11
	s_waitcnt lgkmcnt(1)
	v_mul_f32_e32 v18, v13, v13
	v_fmac_f32_e32 v18, v12, v12
	v_div_scale_f32 v19, s[2:3], v18, v18, 1.0
	v_rcp_f32_e32 v20, v19
	v_pk_add_f32 v[34:35], v[10:11], 0 neg_lo:[1,1] neg_hi:[1,1]
	v_fma_f32 v22, -v19, v20, 1.0
	v_fmac_f32_e32 v20, v22, v20
	v_div_scale_f32 v22, vcc, 1.0, v18, 1.0
	v_mul_f32_e32 v23, v22, v20
	v_fma_f32 v24, -v19, v23, v22
	v_fmac_f32_e32 v23, v24, v20
	v_fma_f32 v19, -v19, v23, v22
	v_div_fmas_f32 v19, v19, v20, v23
	v_div_fixup_f32 v22, v19, v18, 1.0
	v_lshlrev_b32_e32 v18, 3, v21
	v_add_u32_e32 v24, 32, v18
	ds_read2st64_b64 v[18:21], v24 offset0:10 offset1:11
	s_waitcnt lgkmcnt(1)
	v_mul_f32_e32 v23, v13, v15
	v_fmac_f32_e32 v23, v14, v12
	v_mul_f32_e32 v28, v22, v23
	v_mul_f32_e64 v13, v13, -v14
	s_waitcnt lgkmcnt(0)
	v_mul_f32_e32 v23, v21, v21
	v_fmac_f32_e32 v23, v20, v20
	v_div_scale_f32 v25, s[2:3], v23, v23, 1.0
	v_rcp_f32_e32 v26, v25
	v_fmac_f32_e32 v13, v15, v12
	v_mul_f32_e32 v30, v13, v22
	ds_read2st64_b64 v[12:15], v8 offset0:12 offset1:14
	v_fma_f32 v22, -v25, v26, 1.0
	v_fmac_f32_e32 v26, v22, v26
	v_div_scale_f32 v22, vcc, 1.0, v23, 1.0
	v_mul_f32_e32 v27, v22, v26
	v_fma_f32 v29, -v25, v27, v22
	v_fmac_f32_e32 v27, v29, v26
	v_fma_f32 v22, -v25, v27, v22
	v_div_fmas_f32 v22, v22, v26, v27
	v_div_fixup_f32 v22, v22, v23, 1.0
	s_waitcnt lgkmcnt(0)
	v_mul_f32_e32 v23, v21, v13
	v_fmac_f32_e32 v23, v12, v20
	v_mul_f32_e64 v12, v21, -v12
	v_fmac_f32_e32 v12, v13, v20
	v_mul_f32_e32 v32, v22, v23
	v_mul_f32_e32 v12, v12, v22
	ds_read2st64_b64 v[20:23], v9 offset0:12 offset1:14
	ds_read2st64_b64 v[24:27], v24 offset0:12 offset1:14
	v_pk_mov_b32 v[34:35], v[10:11], v[34:35] op_sel:[1,0]
	v_sub_u32_e64 v9, v0, 8 clamp
	v_pk_mul_f32 v[34:35], v[30:31], v[34:35] op_sel_hi:[0,1]
	v_pk_fma_f32 v[10:11], v[10:11], v[28:29], v[34:35] op_sel_hi:[1,0,1] neg_lo:[1,0,0] neg_hi:[1,0,0]
	s_waitcnt lgkmcnt(1)
	v_xor_b32_e32 v34, 0x80000000, v21
	v_mov_b32_e32 v35, v20
	v_pk_mul_f32 v[34:35], v[30:31], v[34:35] op_sel_hi:[0,1]
	v_pk_fma_f32 v[20:21], v[20:21], v[28:29], v[34:35] op_sel_hi:[1,0,1]
	v_lshlrev_b32_e32 v9, 3, v9
	v_pk_add_f32 v[16:17], v[16:17], v[20:21] neg_lo:[0,1] neg_hi:[0,1]
	v_xor_b32_e32 v20, 0x80000000, v19
	v_mov_b32_e32 v21, v18
	v_pk_mul_f32 v[20:21], v[12:13], v[20:21] op_sel_hi:[0,1]
	v_pk_fma_f32 v[18:19], v[18:19], v[32:33], v[20:21] op_sel_hi:[1,0,1]
	v_xor_b32_e32 v20, 0x80000000, v23
	v_mov_b32_e32 v21, v22
	v_pk_mul_f32 v[20:21], v[30:31], v[20:21] op_sel_hi:[0,1]
	v_pk_add_f32 v[16:17], v[16:17], v[18:19] neg_lo:[0,1] neg_hi:[0,1]
	s_waitcnt lgkmcnt(0)
	v_pk_add_f32 v[18:19], v[24:25], 0 neg_lo:[1,1] neg_hi:[1,1]
	v_pk_fma_f32 v[20:21], v[22:23], v[28:29], v[20:21] op_sel_hi:[1,0,1]
	v_pk_mov_b32 v[18:19], v[24:25], v[18:19] op_sel:[1,0]
	v_pk_add_f32 v[14:15], v[14:15], v[20:21] neg_lo:[0,1] neg_hi:[0,1]
	v_xor_b32_e32 v20, 0x80000000, v27
	v_mov_b32_e32 v21, v26
	v_pk_mul_f32 v[18:19], v[12:13], v[18:19] op_sel_hi:[0,1]
	v_pk_mul_f32 v[12:13], v[12:13], v[20:21] op_sel_hi:[0,1]
	v_pk_fma_f32 v[12:13], v[26:27], v[32:33], v[12:13] op_sel_hi:[1,0,1]
	v_pk_fma_f32 v[18:19], v[24:25], v[32:33], v[18:19] op_sel_hi:[1,0,1] neg_lo:[1,0,0] neg_hi:[1,0,0]
	v_pk_add_f32 v[12:13], v[14:15], v[12:13] neg_lo:[0,1] neg_hi:[0,1]
	; wave barrier
	ds_write2st64_b64 v8, v[10:11], v[16:17] offset0:10 offset1:11
	ds_write2st64_b64 v8, v[18:19], v[12:13] offset0:12 offset1:14
	s_waitcnt lgkmcnt(0)
	; wave barrier
	ds_read2st64_b64 v[10:13], v9 offset0:10 offset1:11
	v_min_u32_e32 v21, 55, v0
	ds_read2st64_b64 v[14:17], v8 offset0:10 offset1:11
	s_waitcnt lgkmcnt(1)
	v_mul_f32_e32 v18, v13, v13
	v_fmac_f32_e32 v18, v12, v12
	v_div_scale_f32 v19, s[2:3], v18, v18, 1.0
	v_rcp_f32_e32 v20, v19
	v_pk_add_f32 v[34:35], v[10:11], 0 neg_lo:[1,1] neg_hi:[1,1]
	v_fma_f32 v22, -v19, v20, 1.0
	v_fmac_f32_e32 v20, v22, v20
	v_div_scale_f32 v22, vcc, 1.0, v18, 1.0
	v_mul_f32_e32 v23, v22, v20
	v_fma_f32 v24, -v19, v23, v22
	v_fmac_f32_e32 v23, v24, v20
	v_fma_f32 v19, -v19, v23, v22
	v_div_fmas_f32 v19, v19, v20, v23
	v_div_fixup_f32 v22, v19, v18, 1.0
	v_lshlrev_b32_e32 v18, 3, v21
	v_add_u32_e32 v24, 64, v18
	ds_read2st64_b64 v[18:21], v24 offset0:10 offset1:11
	s_waitcnt lgkmcnt(1)
	v_mul_f32_e32 v23, v13, v15
	v_fmac_f32_e32 v23, v14, v12
	v_mul_f32_e32 v28, v22, v23
	v_mul_f32_e64 v13, v13, -v14
	s_waitcnt lgkmcnt(0)
	v_mul_f32_e32 v23, v21, v21
	v_fmac_f32_e32 v23, v20, v20
	v_div_scale_f32 v25, s[2:3], v23, v23, 1.0
	v_rcp_f32_e32 v26, v25
	v_fmac_f32_e32 v13, v15, v12
	v_mul_f32_e32 v30, v13, v22
	ds_read2st64_b64 v[12:15], v8 offset0:12 offset1:14
	v_fma_f32 v22, -v25, v26, 1.0
	v_fmac_f32_e32 v26, v22, v26
	v_div_scale_f32 v22, vcc, 1.0, v23, 1.0
	v_mul_f32_e32 v27, v22, v26
	v_fma_f32 v29, -v25, v27, v22
	v_fmac_f32_e32 v27, v29, v26
	v_fma_f32 v22, -v25, v27, v22
	v_div_fmas_f32 v22, v22, v26, v27
	v_div_fixup_f32 v22, v22, v23, 1.0
	s_waitcnt lgkmcnt(0)
	v_mul_f32_e32 v23, v21, v13
	v_fmac_f32_e32 v23, v12, v20
	v_mul_f32_e64 v12, v21, -v12
	v_fmac_f32_e32 v12, v13, v20
	v_mul_f32_e32 v32, v22, v23
	v_mul_f32_e32 v12, v12, v22
	ds_read2st64_b64 v[20:23], v9 offset0:12 offset1:14
	ds_read2st64_b64 v[24:27], v24 offset0:12 offset1:14
	v_pk_mov_b32 v[34:35], v[10:11], v[34:35] op_sel:[1,0]
	v_sub_u32_e64 v9, v0, 16 clamp
	v_pk_mul_f32 v[34:35], v[30:31], v[34:35] op_sel_hi:[0,1]
	v_pk_fma_f32 v[10:11], v[10:11], v[28:29], v[34:35] op_sel_hi:[1,0,1] neg_lo:[1,0,0] neg_hi:[1,0,0]
	s_waitcnt lgkmcnt(1)
	v_xor_b32_e32 v34, 0x80000000, v21
	v_mov_b32_e32 v35, v20
	v_pk_mul_f32 v[34:35], v[30:31], v[34:35] op_sel_hi:[0,1]
	v_pk_fma_f32 v[20:21], v[20:21], v[28:29], v[34:35] op_sel_hi:[1,0,1]
	v_lshlrev_b32_e32 v9, 3, v9
	v_pk_add_f32 v[16:17], v[16:17], v[20:21] neg_lo:[0,1] neg_hi:[0,1]
	v_xor_b32_e32 v20, 0x80000000, v19
	v_mov_b32_e32 v21, v18
	v_pk_mul_f32 v[20:21], v[12:13], v[20:21] op_sel_hi:[0,1]
	v_pk_fma_f32 v[18:19], v[18:19], v[32:33], v[20:21] op_sel_hi:[1,0,1]
	v_xor_b32_e32 v20, 0x80000000, v23
	v_mov_b32_e32 v21, v22
	v_pk_mul_f32 v[20:21], v[30:31], v[20:21] op_sel_hi:[0,1]
	v_pk_add_f32 v[16:17], v[16:17], v[18:19] neg_lo:[0,1] neg_hi:[0,1]
	s_waitcnt lgkmcnt(0)
	v_pk_add_f32 v[18:19], v[24:25], 0 neg_lo:[1,1] neg_hi:[1,1]
	v_pk_fma_f32 v[20:21], v[22:23], v[28:29], v[20:21] op_sel_hi:[1,0,1]
	v_pk_mov_b32 v[18:19], v[24:25], v[18:19] op_sel:[1,0]
	v_pk_add_f32 v[14:15], v[14:15], v[20:21] neg_lo:[0,1] neg_hi:[0,1]
	v_xor_b32_e32 v20, 0x80000000, v27
	v_mov_b32_e32 v21, v26
	v_pk_mul_f32 v[18:19], v[12:13], v[18:19] op_sel_hi:[0,1]
	v_pk_mul_f32 v[12:13], v[12:13], v[20:21] op_sel_hi:[0,1]
	v_pk_fma_f32 v[12:13], v[26:27], v[32:33], v[12:13] op_sel_hi:[1,0,1]
	v_pk_fma_f32 v[18:19], v[24:25], v[32:33], v[18:19] op_sel_hi:[1,0,1] neg_lo:[1,0,0] neg_hi:[1,0,0]
	v_pk_add_f32 v[12:13], v[14:15], v[12:13] neg_lo:[0,1] neg_hi:[0,1]
	; wave barrier
	ds_write2st64_b64 v8, v[10:11], v[16:17] offset0:10 offset1:11
	ds_write2st64_b64 v8, v[18:19], v[12:13] offset0:12 offset1:14
	s_waitcnt lgkmcnt(0)
	; wave barrier
	ds_read2st64_b64 v[10:13], v9 offset0:10 offset1:11
	v_min_u32_e32 v21, 47, v0
	ds_read2st64_b64 v[14:17], v8 offset0:10 offset1:11
	s_waitcnt lgkmcnt(1)
	v_mul_f32_e32 v18, v13, v13
	v_fmac_f32_e32 v18, v12, v12
	v_div_scale_f32 v19, s[2:3], v18, v18, 1.0
	v_rcp_f32_e32 v20, v19
	v_pk_add_f32 v[34:35], v[10:11], 0 neg_lo:[1,1] neg_hi:[1,1]
	v_fma_f32 v22, -v19, v20, 1.0
	v_fmac_f32_e32 v20, v22, v20
	v_div_scale_f32 v22, vcc, 1.0, v18, 1.0
	v_mul_f32_e32 v23, v22, v20
	v_fma_f32 v24, -v19, v23, v22
	v_fmac_f32_e32 v23, v24, v20
	v_fma_f32 v19, -v19, v23, v22
	v_div_fmas_f32 v19, v19, v20, v23
	v_div_fixup_f32 v22, v19, v18, 1.0
	v_lshlrev_b32_e32 v18, 3, v21
	v_add_u32_e32 v24, 0x80, v18
	ds_read2st64_b64 v[18:21], v24 offset0:10 offset1:11
	s_waitcnt lgkmcnt(1)
	v_mul_f32_e32 v23, v13, v15
	v_fmac_f32_e32 v23, v14, v12
	v_mul_f32_e32 v28, v22, v23
	v_mul_f32_e64 v13, v13, -v14
	s_waitcnt lgkmcnt(0)
	v_mul_f32_e32 v23, v21, v21
	v_fmac_f32_e32 v23, v20, v20
	v_div_scale_f32 v25, s[2:3], v23, v23, 1.0
	v_rcp_f32_e32 v26, v25
	v_fmac_f32_e32 v13, v15, v12
	v_mul_f32_e32 v30, v13, v22
	ds_read2st64_b64 v[12:15], v8 offset0:12 offset1:14
	v_fma_f32 v22, -v25, v26, 1.0
	v_fmac_f32_e32 v26, v22, v26
	v_div_scale_f32 v22, vcc, 1.0, v23, 1.0
	v_mul_f32_e32 v27, v22, v26
	v_fma_f32 v29, -v25, v27, v22
	v_fmac_f32_e32 v27, v29, v26
	v_fma_f32 v22, -v25, v27, v22
	v_div_fmas_f32 v22, v22, v26, v27
	v_div_fixup_f32 v22, v22, v23, 1.0
	s_waitcnt lgkmcnt(0)
	v_mul_f32_e32 v23, v21, v13
	v_fmac_f32_e32 v23, v12, v20
	v_mul_f32_e64 v12, v21, -v12
	v_fmac_f32_e32 v12, v13, v20
	v_mul_f32_e32 v32, v22, v23
	v_mul_f32_e32 v12, v12, v22
	ds_read2st64_b64 v[20:23], v9 offset0:12 offset1:14
	ds_read2st64_b64 v[24:27], v24 offset0:12 offset1:14
	v_pk_mov_b32 v[34:35], v[10:11], v[34:35] op_sel:[1,0]
	v_cmp_gt_u32_e32 vcc, 32, v0
	v_pk_mul_f32 v[34:35], v[30:31], v[34:35] op_sel_hi:[0,1]
	v_pk_fma_f32 v[10:11], v[10:11], v[28:29], v[34:35] op_sel_hi:[1,0,1] neg_lo:[1,0,0] neg_hi:[1,0,0]
	s_waitcnt lgkmcnt(1)
	v_xor_b32_e32 v34, 0x80000000, v21
	v_mov_b32_e32 v35, v20
	v_pk_mul_f32 v[34:35], v[30:31], v[34:35] op_sel_hi:[0,1]
	v_pk_fma_f32 v[20:21], v[20:21], v[28:29], v[34:35] op_sel_hi:[1,0,1]
	s_waitcnt lgkmcnt(0)
	v_pk_add_f32 v[16:17], v[16:17], v[20:21] neg_lo:[0,1] neg_hi:[0,1]
	v_xor_b32_e32 v20, 0x80000000, v19
	v_mov_b32_e32 v21, v18
	v_pk_mul_f32 v[20:21], v[12:13], v[20:21] op_sel_hi:[0,1]
	v_pk_fma_f32 v[18:19], v[18:19], v[32:33], v[20:21] op_sel_hi:[1,0,1]
	v_xor_b32_e32 v20, 0x80000000, v23
	v_mov_b32_e32 v21, v22
	v_pk_mul_f32 v[20:21], v[30:31], v[20:21] op_sel_hi:[0,1]
	v_pk_add_f32 v[16:17], v[16:17], v[18:19] neg_lo:[0,1] neg_hi:[0,1]
	v_pk_add_f32 v[18:19], v[24:25], 0 neg_lo:[1,1] neg_hi:[1,1]
	v_pk_fma_f32 v[20:21], v[22:23], v[28:29], v[20:21] op_sel_hi:[1,0,1]
	v_pk_mov_b32 v[18:19], v[24:25], v[18:19] op_sel:[1,0]
	v_pk_add_f32 v[14:15], v[14:15], v[20:21] neg_lo:[0,1] neg_hi:[0,1]
	v_xor_b32_e32 v20, 0x80000000, v27
	v_mov_b32_e32 v21, v26
	v_pk_mul_f32 v[18:19], v[12:13], v[18:19] op_sel_hi:[0,1]
	v_pk_mul_f32 v[12:13], v[12:13], v[20:21] op_sel_hi:[0,1]
	v_pk_fma_f32 v[12:13], v[26:27], v[32:33], v[12:13] op_sel_hi:[1,0,1]
	v_pk_fma_f32 v[18:19], v[24:25], v[32:33], v[18:19] op_sel_hi:[1,0,1] neg_lo:[1,0,0] neg_hi:[1,0,0]
	; wave barrier
	v_pk_add_f32 v[12:13], v[14:15], v[12:13] neg_lo:[0,1] neg_hi:[0,1]
	ds_write2st64_b64 v8, v[10:11], v[16:17] offset0:10 offset1:11
	ds_write2st64_b64 v8, v[18:19], v[12:13] offset0:12 offset1:14
	s_waitcnt lgkmcnt(0)
	; wave barrier
	s_and_saveexec_b64 s[2:3], vcc
	s_cbranch_execz .LBB48_4
; %bb.3:
	v_or_b32_e32 v10, 0x1600, v8
	v_or_b32_e32 v14, 0x1800, v8
	;; [unrolled: 1-line block ×4, first 2 shown]
	ds_read2_b64 v[10:13], v10 offset1:32
	ds_read_b64 v[14:15], v14
	ds_read_b32 v16, v17
	ds_read_b64 v[18:19], v17
	ds_read_b64 v[20:21], v9 offset:256
	s_waitcnt lgkmcnt(4)
	v_xor_b32_e32 v22, 0x80000000, v13
	s_waitcnt lgkmcnt(3)
	v_xor_b32_e32 v24, 0x80000000, v15
	v_mov_b32_e32 v23, v12
	v_mov_b32_e32 v25, v14
	v_pk_mul_f32 v[26:27], v[10:11], v[22:23] op_sel:[1,0]
	s_waitcnt lgkmcnt(0)
	v_pk_mul_f32 v[28:29], v[20:21], v[24:25] op_sel:[1,0]
	v_pk_fma_f32 v[26:27], v[12:13], v[10:11], v[26:27] op_sel_hi:[1,0,1]
	v_pk_fma_f32 v[28:29], v[14:15], v[20:21], v[28:29] op_sel_hi:[1,0,1]
	s_nop 0
	v_pk_add_f32 v[26:27], v[26:27], v[28:29] neg_lo:[0,1] neg_hi:[0,1]
	ds_read2_b32 v[28:29], v17 offset0:1 offset1:64
	ds_read_b32 v30, v17 offset:260
	v_mul_f32_e32 v9, v27, v27
	v_fmac_f32_e32 v9, v26, v26
	v_div_scale_f32 v31, s[4:5], v9, v9, 1.0
	v_rcp_f32_e32 v32, v31
	s_waitcnt lgkmcnt(1)
	v_pk_mul_f32 v[22:23], v[28:29], v[22:23] op_sel_hi:[0,1]
	v_pk_fma_f32 v[12:13], v[12:13], v[16:17], v[22:23] op_sel_hi:[1,0,1]
	ds_read_b64 v[16:17], v17 offset:256
	v_fma_f32 v33, -v31, v32, 1.0
	v_fmac_f32_e32 v32, v33, v32
	v_div_scale_f32 v33, vcc, 1.0, v9, 1.0
	v_mul_f32_e32 v34, v33, v32
	v_fma_f32 v35, -v31, v34, v33
	v_fmac_f32_e32 v34, v35, v32
	v_fma_f32 v31, -v31, v34, v33
	v_div_fmas_f32 v31, v31, v32, v34
	v_div_fixup_f32 v9, v31, v9, 1.0
	v_fma_f32 v31, 0, v27, v26
	s_waitcnt lgkmcnt(1)
	v_pk_mul_f32 v[22:23], v[30:31], v[24:25] op_sel_hi:[0,1]
	v_mov_b32_e32 v24, v29
	v_pk_fma_f32 v[14:15], v[14:15], v[24:25], v[22:23] op_sel_hi:[1,0,1]
	v_fma_f32 v26, v26, 0, -v27
	v_pk_add_f32 v[12:13], v[12:13], v[14:15] neg_lo:[0,1] neg_hi:[0,1]
	v_mul_f32_e32 v26, v26, v9
	v_xor_b32_e32 v14, 0x80000000, v13
	v_mov_b32_e32 v15, v12
	v_mul_f32_e32 v32, v31, v9
	v_pk_mul_f32 v[14:15], v[26:27], v[14:15] op_sel_hi:[0,1]
	v_pk_fma_f32 v[12:13], v[12:13], v[32:33], v[14:15] op_sel_hi:[1,0,1]
	s_waitcnt lgkmcnt(0)
	v_xor_b32_e32 v14, 0x80000000, v17
	v_mov_b32_e32 v15, v16
	v_pk_mul_f32 v[14:15], v[10:11], v[14:15] op_sel:[1,0]
	v_add_u32_e32 v9, 0x1800, v8
	v_pk_fma_f32 v[10:11], v[16:17], v[10:11], v[14:15] op_sel_hi:[1,0,1]
	v_xor_b32_e32 v14, 0x80000000, v19
	v_mov_b32_e32 v15, v18
	v_pk_mul_f32 v[14:15], v[20:21], v[14:15] op_sel:[1,0]
	s_nop 0
	v_pk_fma_f32 v[14:15], v[18:19], v[20:21], v[14:15] op_sel_hi:[1,0,1]
	s_nop 0
	v_pk_add_f32 v[10:11], v[10:11], v[14:15] neg_lo:[0,1] neg_hi:[0,1]
	s_nop 0
	v_xor_b32_e32 v14, 0x80000000, v11
	v_mov_b32_e32 v15, v10
	v_pk_mul_f32 v[14:15], v[26:27], v[14:15] op_sel_hi:[0,1]
	v_pk_fma_f32 v[10:11], v[10:11], v[32:33], v[14:15] op_sel_hi:[1,0,1]
	ds_write2_b64 v9, v[12:13], v[10:11] offset0:64 offset1:96
.LBB48_4:
	s_or_b64 exec, exec, s[2:3]
	s_waitcnt lgkmcnt(0)
	; wave barrier
	ds_read_b64 v[10:11], v8 offset:6656
	v_lshlrev_b32_e32 v9, 4, v0
	v_or_b32_e32 v8, 0xc00, v9
	s_waitcnt lgkmcnt(0)
	ds_write_b64 v9, v[10:11] offset:3080
	s_waitcnt lgkmcnt(0)
	; wave barrier
	s_and_saveexec_b64 s[2:3], s[0:1]
	s_cbranch_execz .LBB48_10
; %bb.5:
	v_cmp_ne_u32_e32 vcc, 0, v0
	v_mov_b32_e32 v0, 0x1000
	v_lshl_or_b32 v0, v6, 3, v0
                                        ; implicit-def: $vgpr6
	s_and_saveexec_b64 s[0:1], vcc
	s_xor_b64 s[0:1], exec, s[0:1]
	s_cbranch_execz .LBB48_7
; %bb.6:
	v_add_u32_e32 v6, -8, v8
	ds_read_b64 v[14:15], v7
	ds_read_b64 v[16:17], v0
	;; [unrolled: 1-line block ×3, first 2 shown]
	ds_read2st64_b64 v[10:13], v7 offset0:2 offset1:4
	ds_read_b64 v[6:7], v8 offset:8
	s_waitcnt lgkmcnt(2)
	v_mul_f32_e64 v0, v19, -v15
	v_fmac_f32_e32 v0, v14, v18
	v_mul_f32_e32 v9, v19, v14
	s_waitcnt lgkmcnt(0)
	v_mul_f32_e64 v14, v7, -v13
	v_fmac_f32_e32 v14, v12, v6
	v_mul_f32_e32 v7, v7, v12
	v_mul_f32_e32 v12, v11, v11
	v_fmac_f32_e32 v12, v10, v10
	v_fmac_f32_e32 v9, v15, v18
	v_div_scale_f32 v15, s[4:5], v12, v12, 1.0
	v_sub_f32_e32 v0, v16, v0
	v_rcp_f32_e32 v16, v15
	v_sub_f32_e32 v9, v17, v9
	v_fmac_f32_e32 v7, v13, v6
	v_sub_f32_e32 v6, v9, v7
	v_fma_f32 v7, -v15, v16, 1.0
	v_fmac_f32_e32 v16, v7, v16
	v_div_scale_f32 v7, vcc, 1.0, v12, 1.0
	v_mul_f32_e32 v9, v7, v16
	v_fma_f32 v13, -v15, v9, v7
	v_fmac_f32_e32 v9, v13, v16
	v_fma_f32 v7, -v15, v9, v7
	v_sub_f32_e32 v0, v0, v14
	v_div_fmas_f32 v7, v7, v16, v9
	v_mul_f32_e32 v9, v11, v6
	v_div_fixup_f32 v7, v7, v12, 1.0
	v_fmac_f32_e32 v9, v0, v10
	v_mul_f32_e64 v0, v11, -v0
	v_mul_f32_e32 v9, v7, v9
	v_fmac_f32_e32 v0, v6, v10
	v_mul_f32_e32 v6, v7, v0
	ds_write_b32 v8, v9
                                        ; implicit-def: $vgpr7
                                        ; implicit-def: $vgpr0
.LBB48_7:
	s_andn2_saveexec_b64 s[0:1], s[0:1]
	s_cbranch_execz .LBB48_9
; %bb.8:
	ds_read2st64_b64 v[10:13], v7 offset0:2 offset1:4
	ds_read_b64 v[6:7], v8 offset:8
	ds_read_b64 v[14:15], v0
	s_waitcnt lgkmcnt(2)
	v_mul_f32_e32 v9, v11, v11
	s_waitcnt lgkmcnt(1)
	v_mul_f32_e64 v0, v7, -v13
	v_fmac_f32_e32 v9, v10, v10
	v_mul_f32_e32 v7, v7, v12
	v_fmac_f32_e32 v0, v12, v6
	v_div_scale_f32 v12, s[4:5], v9, v9, 1.0
	v_rcp_f32_e32 v16, v12
	v_fmac_f32_e32 v7, v13, v6
	s_waitcnt lgkmcnt(0)
	v_sub_f32_e32 v6, v15, v7
	v_sub_f32_e32 v0, v14, v0
	v_fma_f32 v7, -v12, v16, 1.0
	v_fmac_f32_e32 v16, v7, v16
	v_div_scale_f32 v7, vcc, 1.0, v9, 1.0
	v_mul_f32_e32 v13, v7, v16
	v_fma_f32 v14, -v12, v13, v7
	v_fmac_f32_e32 v13, v14, v16
	v_fma_f32 v7, -v12, v13, v7
	v_div_fmas_f32 v7, v7, v16, v13
	v_div_fixup_f32 v7, v7, v9, 1.0
	v_mul_f32_e32 v9, v11, v6
	v_fmac_f32_e32 v9, v0, v10
	v_mul_f32_e64 v0, v11, -v0
	v_fmac_f32_e32 v0, v6, v10
	v_mul_f32_e32 v9, v7, v9
	v_mul_f32_e32 v6, v0, v7
	ds_write_b32 v8, v9
.LBB48_9:
	s_or_b64 exec, exec, s[0:1]
	ds_write_b32 v8, v6 offset:4
.LBB48_10:
	s_or_b64 exec, exec, s[2:3]
	v_sub_u32_e32 v0, v8, v1
	s_waitcnt lgkmcnt(0)
	; wave barrier
	ds_read2st64_b64 v[6:9], v0 offset1:1
	s_waitcnt lgkmcnt(0)
	global_store_dwordx2 v[2:3], v[6:7], off
	global_store_dwordx2 v[4:5], v[8:9], off
	s_endpgm
	.section	.rodata,"a",@progbits
	.p2align	6, 0x0
	.amdhsa_kernel _ZN9rocsparseL51gtsv_nopivot_strided_batch_crpcr_pow2_shared_kernelILj64ELj64E21rocsparse_complex_numIfEEEviiiPKT1_S5_S5_PS3_
		.amdhsa_group_segment_fixed_size 7680
		.amdhsa_private_segment_fixed_size 0
		.amdhsa_kernarg_size 48
		.amdhsa_user_sgpr_count 2
		.amdhsa_user_sgpr_dispatch_ptr 0
		.amdhsa_user_sgpr_queue_ptr 0
		.amdhsa_user_sgpr_kernarg_segment_ptr 1
		.amdhsa_user_sgpr_dispatch_id 0
		.amdhsa_user_sgpr_kernarg_preload_length 0
		.amdhsa_user_sgpr_kernarg_preload_offset 0
		.amdhsa_user_sgpr_private_segment_size 0
		.amdhsa_uses_dynamic_stack 0
		.amdhsa_enable_private_segment 0
		.amdhsa_system_sgpr_workgroup_id_x 1
		.amdhsa_system_sgpr_workgroup_id_y 0
		.amdhsa_system_sgpr_workgroup_id_z 0
		.amdhsa_system_sgpr_workgroup_info 0
		.amdhsa_system_vgpr_workitem_id 0
		.amdhsa_next_free_vgpr 73
		.amdhsa_next_free_sgpr 91
		.amdhsa_accum_offset 36
		.amdhsa_reserve_vcc 1
		.amdhsa_float_round_mode_32 0
		.amdhsa_float_round_mode_16_64 0
		.amdhsa_float_denorm_mode_32 3
		.amdhsa_float_denorm_mode_16_64 3
		.amdhsa_dx10_clamp 1
		.amdhsa_ieee_mode 1
		.amdhsa_fp16_overflow 0
		.amdhsa_tg_split 0
		.amdhsa_exception_fp_ieee_invalid_op 0
		.amdhsa_exception_fp_denorm_src 0
		.amdhsa_exception_fp_ieee_div_zero 0
		.amdhsa_exception_fp_ieee_overflow 0
		.amdhsa_exception_fp_ieee_underflow 0
		.amdhsa_exception_fp_ieee_inexact 0
		.amdhsa_exception_int_div_zero 0
	.end_amdhsa_kernel
	.section	.text._ZN9rocsparseL51gtsv_nopivot_strided_batch_crpcr_pow2_shared_kernelILj64ELj64E21rocsparse_complex_numIfEEEviiiPKT1_S5_S5_PS3_,"axG",@progbits,_ZN9rocsparseL51gtsv_nopivot_strided_batch_crpcr_pow2_shared_kernelILj64ELj64E21rocsparse_complex_numIfEEEviiiPKT1_S5_S5_PS3_,comdat
.Lfunc_end48:
	.size	_ZN9rocsparseL51gtsv_nopivot_strided_batch_crpcr_pow2_shared_kernelILj64ELj64E21rocsparse_complex_numIfEEEviiiPKT1_S5_S5_PS3_, .Lfunc_end48-_ZN9rocsparseL51gtsv_nopivot_strided_batch_crpcr_pow2_shared_kernelILj64ELj64E21rocsparse_complex_numIfEEEviiiPKT1_S5_S5_PS3_
                                        ; -- End function
	.set _ZN9rocsparseL51gtsv_nopivot_strided_batch_crpcr_pow2_shared_kernelILj64ELj64E21rocsparse_complex_numIfEEEviiiPKT1_S5_S5_PS3_.num_vgpr, 36
	.set _ZN9rocsparseL51gtsv_nopivot_strided_batch_crpcr_pow2_shared_kernelILj64ELj64E21rocsparse_complex_numIfEEEviiiPKT1_S5_S5_PS3_.num_agpr, 0
	.set _ZN9rocsparseL51gtsv_nopivot_strided_batch_crpcr_pow2_shared_kernelILj64ELj64E21rocsparse_complex_numIfEEEviiiPKT1_S5_S5_PS3_.numbered_sgpr, 12
	.set _ZN9rocsparseL51gtsv_nopivot_strided_batch_crpcr_pow2_shared_kernelILj64ELj64E21rocsparse_complex_numIfEEEviiiPKT1_S5_S5_PS3_.num_named_barrier, 0
	.set _ZN9rocsparseL51gtsv_nopivot_strided_batch_crpcr_pow2_shared_kernelILj64ELj64E21rocsparse_complex_numIfEEEviiiPKT1_S5_S5_PS3_.private_seg_size, 0
	.set _ZN9rocsparseL51gtsv_nopivot_strided_batch_crpcr_pow2_shared_kernelILj64ELj64E21rocsparse_complex_numIfEEEviiiPKT1_S5_S5_PS3_.uses_vcc, 1
	.set _ZN9rocsparseL51gtsv_nopivot_strided_batch_crpcr_pow2_shared_kernelILj64ELj64E21rocsparse_complex_numIfEEEviiiPKT1_S5_S5_PS3_.uses_flat_scratch, 0
	.set _ZN9rocsparseL51gtsv_nopivot_strided_batch_crpcr_pow2_shared_kernelILj64ELj64E21rocsparse_complex_numIfEEEviiiPKT1_S5_S5_PS3_.has_dyn_sized_stack, 0
	.set _ZN9rocsparseL51gtsv_nopivot_strided_batch_crpcr_pow2_shared_kernelILj64ELj64E21rocsparse_complex_numIfEEEviiiPKT1_S5_S5_PS3_.has_recursion, 0
	.set _ZN9rocsparseL51gtsv_nopivot_strided_batch_crpcr_pow2_shared_kernelILj64ELj64E21rocsparse_complex_numIfEEEviiiPKT1_S5_S5_PS3_.has_indirect_call, 0
	.section	.AMDGPU.csdata,"",@progbits
; Kernel info:
; codeLenInByte = 4712
; TotalNumSgprs: 18
; NumVgprs: 36
; NumAgprs: 0
; TotalNumVgprs: 36
; ScratchSize: 0
; MemoryBound: 0
; FloatMode: 240
; IeeeMode: 1
; LDSByteSize: 7680 bytes/workgroup (compile time only)
; SGPRBlocks: 12
; VGPRBlocks: 9
; NumSGPRsForWavesPerEU: 97
; NumVGPRsForWavesPerEU: 73
; AccumOffset: 36
; Occupancy: 6
; WaveLimiterHint : 0
; COMPUTE_PGM_RSRC2:SCRATCH_EN: 0
; COMPUTE_PGM_RSRC2:USER_SGPR: 2
; COMPUTE_PGM_RSRC2:TRAP_HANDLER: 0
; COMPUTE_PGM_RSRC2:TGID_X_EN: 1
; COMPUTE_PGM_RSRC2:TGID_Y_EN: 0
; COMPUTE_PGM_RSRC2:TGID_Z_EN: 0
; COMPUTE_PGM_RSRC2:TIDIG_COMP_CNT: 0
; COMPUTE_PGM_RSRC3_GFX90A:ACCUM_OFFSET: 8
; COMPUTE_PGM_RSRC3_GFX90A:TG_SPLIT: 0
	.section	.text._ZN9rocsparseL51gtsv_nopivot_strided_batch_crpcr_pow2_shared_kernelILj128ELj64E21rocsparse_complex_numIfEEEviiiPKT1_S5_S5_PS3_,"axG",@progbits,_ZN9rocsparseL51gtsv_nopivot_strided_batch_crpcr_pow2_shared_kernelILj128ELj64E21rocsparse_complex_numIfEEEviiiPKT1_S5_S5_PS3_,comdat
	.globl	_ZN9rocsparseL51gtsv_nopivot_strided_batch_crpcr_pow2_shared_kernelILj128ELj64E21rocsparse_complex_numIfEEEviiiPKT1_S5_S5_PS3_ ; -- Begin function _ZN9rocsparseL51gtsv_nopivot_strided_batch_crpcr_pow2_shared_kernelILj128ELj64E21rocsparse_complex_numIfEEEviiiPKT1_S5_S5_PS3_
	.p2align	8
	.type	_ZN9rocsparseL51gtsv_nopivot_strided_batch_crpcr_pow2_shared_kernelILj128ELj64E21rocsparse_complex_numIfEEEviiiPKT1_S5_S5_PS3_,@function
_ZN9rocsparseL51gtsv_nopivot_strided_batch_crpcr_pow2_shared_kernelILj128ELj64E21rocsparse_complex_numIfEEEviiiPKT1_S5_S5_PS3_: ; @_ZN9rocsparseL51gtsv_nopivot_strided_batch_crpcr_pow2_shared_kernelILj128ELj64E21rocsparse_complex_numIfEEEviiiPKT1_S5_S5_PS3_
; %bb.0:
	s_load_dword s3, s[0:1], 0x8
	s_load_dwordx8 s[4:11], s[0:1], 0x10
	v_mov_b32_e32 v5, 0
	s_movk_i32 s0, 0x80
	v_lshlrev_b32_e32 v14, 3, v0
	s_waitcnt lgkmcnt(0)
	s_mul_i32 s3, s3, s2
	v_add_u32_e32 v2, s3, v0
	v_ashrrev_i32_e32 v3, 31, v2
	v_add_u32_e32 v4, 0x80, v2
	v_lshlrev_b64 v[2:3], 3, v[2:3]
	v_lshlrev_b64 v[4:5], 3, v[4:5]
	v_lshl_add_u64 v[6:7], s[4:5], 0, v[2:3]
	v_lshl_add_u64 v[8:9], s[4:5], 0, v[4:5]
	global_load_dwordx2 v[10:11], v[6:7], off
	global_load_dwordx2 v[12:13], v[8:9], off
	v_lshl_add_u64 v[6:7], s[6:7], 0, v[2:3]
	v_lshl_add_u64 v[8:9], s[6:7], 0, v[4:5]
	global_load_dwordx2 v[16:17], v[6:7], off
	global_load_dwordx2 v[20:21], v[8:9], off
	v_lshl_add_u64 v[6:7], s[8:9], 0, v[2:3]
	v_lshl_add_u64 v[8:9], s[8:9], 0, v[4:5]
	v_lshl_add_u64 v[2:3], s[10:11], 0, v[2:3]
	global_load_dwordx2 v[22:23], v[6:7], off
	global_load_dwordx2 v[24:25], v[8:9], off
	v_lshl_add_u64 v[4:5], s[10:11], 0, v[4:5]
	global_load_dwordx2 v[6:7], v[2:3], off
	global_load_dwordx2 v[8:9], v[4:5], off
	v_add_u32_e32 v19, 1, v0
	v_cmp_gt_u32_e64 s[0:1], s0, v0
	s_waitcnt vmcnt(6)
	ds_write2st64_b64 v14, v[10:11], v[12:13] offset1:2
	s_waitcnt vmcnt(4)
	ds_write2st64_b64 v14, v[16:17], v[20:21] offset0:4 offset1:6
	s_waitcnt vmcnt(2)
	ds_write2st64_b64 v14, v[22:23], v[24:25] offset0:8 offset1:10
	;; [unrolled: 2-line block ×3, first 2 shown]
	s_waitcnt lgkmcnt(0)
	s_barrier
	s_and_saveexec_b64 s[2:3], s[0:1]
	s_cbranch_execz .LBB49_2
; %bb.1:
	v_lshlrev_b32_e32 v1, 4, v19
	ds_read_b128 v[6:9], v1 offset:2032
	v_lshlrev_b32_e32 v10, 1, v19
	v_min_u32_e32 v15, 0xff, v10
	ds_read_b128 v[10:13], v1 offset:8176
	v_add_u32_e32 v31, -8, v1
	s_waitcnt lgkmcnt(1)
	v_mul_f32_e32 v18, v7, v7
	v_fmac_f32_e32 v18, v6, v6
	v_div_scale_f32 v20, s[4:5], v18, v18, 1.0
	v_rcp_f32_e32 v21, v20
	v_add_u32_e32 v22, -16, v1
	ds_read_b64 v[16:17], v31
	ds_read_b64 v[28:29], v22
	v_fma_f32 v23, -v20, v21, 1.0
	v_fmac_f32_e32 v21, v23, v21
	v_div_scale_f32 v23, vcc, 1.0, v18, 1.0
	v_mul_f32_e32 v24, v23, v21
	v_fma_f32 v25, -v20, v24, v23
	v_fmac_f32_e32 v24, v25, v21
	v_fma_f32 v20, -v20, v24, v23
	v_div_fmas_f32 v20, v20, v21, v24
	v_lshlrev_b32_e32 v15, 3, v15
	v_div_fixup_f32 v24, v20, v18, 1.0
	ds_read2st64_b64 v[20:23], v15 offset1:4
	s_waitcnt lgkmcnt(2)
	v_mul_f32_e32 v18, v7, v17
	v_mul_f32_e64 v7, v7, -v16
	v_fmac_f32_e32 v18, v16, v6
	v_fmac_f32_e32 v7, v17, v6
	s_waitcnt lgkmcnt(0)
	v_mul_f32_e32 v6, v23, v23
	v_fmac_f32_e32 v6, v22, v22
	v_div_scale_f32 v17, s[4:5], v6, v6, 1.0
	v_rcp_f32_e32 v30, v17
	v_mul_f32_e32 v16, v7, v24
	v_add_u32_e32 v7, 0x800, v1
	v_mul_f32_e32 v18, v24, v18
	ds_read2_b64 v[24:27], v7 offset0:254 offset1:255
	v_fma_f32 v7, -v17, v30, 1.0
	v_fmac_f32_e32 v30, v7, v30
	v_div_scale_f32 v7, vcc, 1.0, v6, 1.0
	v_mul_f32_e32 v32, v7, v30
	v_fma_f32 v33, -v17, v32, v7
	v_fmac_f32_e32 v32, v33, v30
	v_fma_f32 v7, -v17, v32, v7
	v_div_fmas_f32 v7, v7, v30, v32
	v_div_fixup_f32 v6, v7, v6, 1.0
	s_waitcnt lgkmcnt(0)
	v_mul_f32_e32 v7, v23, v27
	v_fmac_f32_e32 v7, v26, v22
	v_mul_f32_e32 v30, v6, v7
	v_mul_f32_e64 v7, v23, -v26
	v_fmac_f32_e32 v7, v27, v22
	v_mul_f32_e32 v22, v7, v6
	v_xor_b32_e32 v6, 0x80000000, v25
	v_mov_b32_e32 v7, v24
	v_pk_mul_f32 v[6:7], v[16:17], v[6:7] op_sel_hi:[0,1]
	v_pk_fma_f32 v[6:7], v[24:25], v[18:19], v[6:7] op_sel_hi:[1,0,1]
	s_nop 0
	v_pk_add_f32 v[24:25], v[8:9], v[6:7] neg_lo:[0,1] neg_hi:[0,1]
	v_xor_b32_e32 v6, 0x80000000, v21
	v_mov_b32_e32 v7, v20
	v_pk_mul_f32 v[6:7], v[22:23], v[6:7] op_sel_hi:[0,1]
	v_pk_fma_f32 v[20:21], v[20:21], v[30:31], v[6:7] op_sel_hi:[1,0,1]
	ds_read2st64_b64 v[6:9], v15 offset0:8 offset1:16
	v_pk_add_f32 v[20:21], v[24:25], v[20:21] neg_lo:[0,1] neg_hi:[0,1]
	v_pk_mul_f32 v[24:25], v[16:17], v[10:11] op_sel:[0,1] op_sel_hi:[0,0] neg_lo:[0,1]
	v_pk_fma_f32 v[10:11], v[10:11], v[18:19], v[24:25] op_sel_hi:[1,0,1]
	s_nop 0
	v_pk_add_f32 v[10:11], v[12:13], v[10:11] neg_lo:[0,1] neg_hi:[0,1]
	s_waitcnt lgkmcnt(0)
	v_xor_b32_e32 v12, 0x80000000, v9
	v_mov_b32_e32 v13, v8
	v_pk_mul_f32 v[12:13], v[22:23], v[12:13] op_sel_hi:[0,1]
	v_pk_fma_f32 v[8:9], v[8:9], v[30:31], v[12:13] op_sel_hi:[1,0,1]
	s_nop 0
	v_pk_add_f32 v[8:9], v[10:11], v[8:9] neg_lo:[0,1] neg_hi:[0,1]
	ds_write_b64 v1, v[8:9] offset:8184
	v_pk_add_f32 v[8:9], v[28:29], 0 neg_lo:[1,1] neg_hi:[1,1]
	v_add_u32_e32 v1, 0x1f8, v1
	v_pk_mov_b32 v[8:9], v[28:29], v[8:9] op_sel:[1,0]
	s_nop 0
	v_pk_mul_f32 v[8:9], v[16:17], v[8:9] op_sel_hi:[0,1]
	v_pk_fma_f32 v[8:9], v[28:29], v[18:19], v[8:9] op_sel_hi:[1,0,1] neg_lo:[1,0,0] neg_hi:[1,0,0]
	ds_write_b64 v31, v[8:9]
	v_pk_add_f32 v[8:9], v[6:7], 0 neg_lo:[1,1] neg_hi:[1,1]
	s_nop 0
	v_pk_mov_b32 v[8:9], v[6:7], v[8:9] op_sel:[1,0]
	s_nop 0
	v_pk_mul_f32 v[8:9], v[22:23], v[8:9] op_sel_hi:[0,1]
	v_pk_fma_f32 v[6:7], v[6:7], v[30:31], v[8:9] op_sel_hi:[1,0,1] neg_lo:[1,0,0] neg_hi:[1,0,0]
	ds_write2st64_b64 v1, v[20:21], v[6:7] offset0:3 offset1:7
.LBB49_2:
	s_or_b64 exec, exec, s[2:3]
	v_cmp_gt_u32_e64 s[2:3], 64, v0
	v_lshlrev_b32_e32 v1, 5, v19
	s_waitcnt lgkmcnt(0)
	s_barrier
	s_and_saveexec_b64 s[4:5], s[2:3]
	s_cbranch_execz .LBB49_4
; %bb.3:
	ds_read2_b64 v[6:9], v1 offset0:253 offset1:255
	v_lshl_or_b32 v10, v19, 2, 1
	v_add_u32_e32 v15, -8, v1
	v_min_u32_e32 v10, 0xff, v10
	ds_read_b64 v[16:17], v15
	s_waitcnt lgkmcnt(1)
	v_mul_f32_e32 v11, v7, v7
	v_fmac_f32_e32 v11, v6, v6
	v_div_scale_f32 v12, s[6:7], v11, v11, 1.0
	v_rcp_f32_e32 v13, v12
	v_lshlrev_b32_e32 v27, 3, v10
	v_subrev_u32_e32 v18, 24, v1
	ds_read_b64 v[24:25], v18
	v_fma_f32 v20, -v12, v13, 1.0
	v_fmac_f32_e32 v13, v20, v13
	v_div_scale_f32 v20, vcc, 1.0, v11, 1.0
	v_mul_f32_e32 v21, v20, v13
	v_fma_f32 v22, -v12, v21, v20
	v_fmac_f32_e32 v21, v22, v13
	v_fma_f32 v12, -v12, v21, v20
	v_div_fmas_f32 v12, v12, v13, v21
	v_div_fixup_f32 v20, v12, v11, 1.0
	ds_read2st64_b64 v[10:13], v27 offset1:4
	s_waitcnt lgkmcnt(2)
	v_mul_f32_e32 v18, v7, v17
	v_mul_f32_e64 v7, v7, -v16
	v_fmac_f32_e32 v18, v16, v6
	v_fmac_f32_e32 v7, v17, v6
	s_waitcnt lgkmcnt(0)
	v_mul_f32_e32 v6, v13, v13
	v_fmac_f32_e32 v6, v12, v12
	v_div_scale_f32 v17, s[6:7], v6, v6, 1.0
	v_rcp_f32_e32 v26, v17
	v_mul_f32_e32 v16, v7, v20
	v_add_u32_e32 v7, 0x800, v1
	v_mul_f32_e32 v18, v20, v18
	ds_read2_b64 v[20:23], v7 offset0:253 offset1:255
	v_fma_f32 v7, -v17, v26, 1.0
	v_fmac_f32_e32 v26, v7, v26
	v_div_scale_f32 v7, vcc, 1.0, v6, 1.0
	v_mul_f32_e32 v28, v7, v26
	v_fma_f32 v29, -v17, v28, v7
	v_fmac_f32_e32 v28, v29, v26
	v_fma_f32 v7, -v17, v28, v7
	v_div_fmas_f32 v7, v7, v26, v28
	v_div_fixup_f32 v6, v7, v6, 1.0
	s_waitcnt lgkmcnt(0)
	v_mul_f32_e32 v7, v13, v23
	v_fmac_f32_e32 v7, v22, v12
	v_mul_f32_e32 v26, v6, v7
	v_mul_f32_e64 v7, v13, -v22
	v_fmac_f32_e32 v7, v23, v12
	v_mul_f32_e32 v22, v7, v6
	v_xor_b32_e32 v6, 0x80000000, v21
	v_mov_b32_e32 v7, v20
	v_pk_mul_f32 v[6:7], v[16:17], v[6:7] op_sel_hi:[0,1]
	v_pk_fma_f32 v[6:7], v[20:21], v[18:19], v[6:7] op_sel_hi:[1,0,1]
	v_xor_b32_e32 v20, 0x80000000, v11
	v_pk_add_f32 v[12:13], v[8:9], v[6:7] neg_lo:[0,1] neg_hi:[0,1]
	v_add_u32_e32 v6, 0x1800, v1
	v_mov_b32_e32 v21, v10
	ds_read2_b64 v[6:9], v6 offset0:253 offset1:255
	v_pk_mul_f32 v[20:21], v[22:23], v[20:21] op_sel_hi:[0,1]
	v_pk_fma_f32 v[10:11], v[10:11], v[26:27], v[20:21] op_sel_hi:[1,0,1]
	s_waitcnt lgkmcnt(0)
	v_xor_b32_e32 v28, 0x80000000, v7
	v_pk_add_f32 v[20:21], v[12:13], v[10:11] neg_lo:[0,1] neg_hi:[0,1]
	ds_read2st64_b64 v[10:13], v27 offset0:8 offset1:16
	v_mov_b32_e32 v29, v6
	v_pk_mul_f32 v[28:29], v[16:17], v[28:29] op_sel_hi:[0,1]
	v_pk_fma_f32 v[6:7], v[6:7], v[18:19], v[28:29] op_sel_hi:[1,0,1]
	s_nop 0
	v_pk_add_f32 v[6:7], v[8:9], v[6:7] neg_lo:[0,1] neg_hi:[0,1]
	s_waitcnt lgkmcnt(0)
	v_xor_b32_e32 v8, 0x80000000, v13
	v_mov_b32_e32 v9, v12
	v_pk_mul_f32 v[8:9], v[22:23], v[8:9] op_sel_hi:[0,1]
	v_pk_fma_f32 v[8:9], v[12:13], v[26:27], v[8:9] op_sel_hi:[1,0,1]
	s_nop 0
	v_pk_add_f32 v[6:7], v[6:7], v[8:9] neg_lo:[0,1] neg_hi:[0,1]
	ds_write_b64 v1, v[6:7] offset:8184
	v_pk_add_f32 v[6:7], v[24:25], 0 neg_lo:[1,1] neg_hi:[1,1]
	v_add_u32_e32 v8, 0x1f8, v1
	v_pk_mov_b32 v[6:7], v[24:25], v[6:7] op_sel:[1,0]
	s_nop 0
	v_pk_mul_f32 v[6:7], v[16:17], v[6:7] op_sel_hi:[0,1]
	v_pk_fma_f32 v[6:7], v[24:25], v[18:19], v[6:7] op_sel_hi:[1,0,1] neg_lo:[1,0,0] neg_hi:[1,0,0]
	ds_write_b64 v15, v[6:7]
	v_pk_add_f32 v[6:7], v[10:11], 0 neg_lo:[1,1] neg_hi:[1,1]
	s_nop 0
	v_pk_mov_b32 v[6:7], v[10:11], v[6:7] op_sel:[1,0]
	s_nop 0
	v_pk_mul_f32 v[6:7], v[22:23], v[6:7] op_sel_hi:[0,1]
	v_pk_fma_f32 v[6:7], v[10:11], v[26:27], v[6:7] op_sel_hi:[1,0,1] neg_lo:[1,0,0] neg_hi:[1,0,0]
	ds_write2st64_b64 v8, v[20:21], v[6:7] offset0:3 offset1:7
.LBB49_4:
	s_or_b64 exec, exec, s[4:5]
	s_waitcnt lgkmcnt(0)
	s_barrier
	s_and_saveexec_b64 s[4:5], s[2:3]
	s_cbranch_execz .LBB49_6
; %bb.5:
	v_add_u32_e32 v10, -8, v1
	v_add_u32_e32 v6, 0x1f8, v1
	ds_read2st64_b64 v[6:9], v6 offset0:3 offset1:7
	ds_read_b64 v[10:11], v10
	ds_read_b64 v[12:13], v1 offset:8184
	s_waitcnt lgkmcnt(1)
	ds_write2st64_b64 v14, v[10:11], v[6:7] offset0:20 offset1:21
	s_waitcnt lgkmcnt(1)
	ds_write2st64_b64 v14, v[8:9], v[12:13] offset0:22 offset1:24
.LBB49_6:
	s_or_b64 exec, exec, s[4:5]
	v_or_b32_e32 v16, 0x2800, v14
	v_or_b32_e32 v17, 0x2c00, v14
	v_add_u32_e32 v18, 0x2a00, v14
	v_or_b32_e32 v15, 0x3000, v14
	s_waitcnt lgkmcnt(0)
	s_barrier
                                        ; implicit-def: $vgpr6_vgpr7
                                        ; implicit-def: $vgpr8_vgpr9
                                        ; implicit-def: $vgpr10_vgpr11
                                        ; implicit-def: $vgpr12_vgpr13
	s_and_saveexec_b64 s[4:5], s[2:3]
	s_cbranch_execz .LBB49_8
; %bb.7:
	v_sub_u32_e64 v6, v0, 1 clamp
	v_lshlrev_b32_e32 v22, 3, v6
	ds_read2st64_b64 v[10:13], v22 offset0:20 offset1:21
	v_min_u32_e32 v6, 63, v19
	v_lshlrev_b32_e32 v19, 3, v6
	ds_read_b64 v[20:21], v16
	s_waitcnt lgkmcnt(1)
	v_mul_f32_e32 v7, v13, v13
	v_fmac_f32_e32 v7, v12, v12
	v_div_scale_f32 v8, s[6:7], v7, v7, 1.0
	v_rcp_f32_e32 v9, v8
	v_div_scale_f32 v6, vcc, 1.0, v7, 1.0
	s_waitcnt lgkmcnt(0)
	v_mul_f32_e32 v30, v13, v21
	v_fma_f32 v23, -v8, v9, 1.0
	v_fmac_f32_e32 v9, v23, v9
	v_mul_f32_e32 v23, v6, v9
	v_fma_f32 v24, -v8, v23, v6
	v_fmac_f32_e32 v23, v24, v9
	v_fma_f32 v6, -v8, v23, v6
	v_div_fmas_f32 v6, v6, v9, v23
	v_div_fixup_f32 v23, v6, v7, 1.0
	ds_read2st64_b64 v[6:9], v19 offset0:20 offset1:21
	ds_read_b64 v[24:25], v17
	ds_read_b64 v[26:27], v18
	;; [unrolled: 1-line block ×3, first 2 shown]
	v_mul_f32_e64 v13, v13, -v20
	s_waitcnt lgkmcnt(3)
	v_mul_f32_e32 v31, v9, v9
	v_fmac_f32_e32 v31, v8, v8
	v_div_scale_f32 v32, s[6:7], v31, v31, 1.0
	v_rcp_f32_e32 v33, v32
	v_fmac_f32_e32 v13, v21, v12
	v_fmac_f32_e32 v30, v20, v12
	v_mul_f32_e32 v12, v13, v23
	v_fma_f32 v13, -v32, v33, 1.0
	v_fmac_f32_e32 v33, v13, v33
	v_div_scale_f32 v13, vcc, 1.0, v31, 1.0
	v_mul_f32_e32 v20, v13, v33
	v_fma_f32 v21, -v32, v20, v13
	v_fmac_f32_e32 v20, v21, v33
	v_fma_f32 v13, -v32, v20, v13
	v_mul_f32_e32 v30, v23, v30
	v_div_fmas_f32 v13, v13, v33, v20
	ds_read2st64_b64 v[20:23], v22 offset0:22 offset1:24
	v_div_fixup_f32 v13, v13, v31, 1.0
	s_waitcnt lgkmcnt(3)
	v_mul_f32_e32 v31, v9, v25
	v_mul_f32_e64 v9, v9, -v24
	v_fmac_f32_e32 v9, v25, v8
	v_fmac_f32_e32 v31, v24, v8
	v_mul_f32_e32 v34, v9, v13
	s_waitcnt lgkmcnt(0)
	v_pk_mul_f32 v[8:9], v[12:13], v[20:21] op_sel:[0,1] op_sel_hi:[0,0] neg_lo:[0,1]
	v_pk_fma_f32 v[8:9], v[20:21], v[30:31], v[8:9] op_sel_hi:[1,0,1]
	v_xor_b32_e32 v20, 0x80000000, v7
	v_pk_add_f32 v[8:9], v[26:27], v[8:9] neg_lo:[0,1] neg_hi:[0,1]
	ds_read2st64_b64 v[24:27], v19 offset0:22 offset1:24
	v_mov_b32_e32 v21, v6
	v_mul_f32_e32 v32, v13, v31
	v_pk_mul_f32 v[20:21], v[34:35], v[20:21] op_sel_hi:[0,1]
	v_pk_fma_f32 v[6:7], v[6:7], v[32:33], v[20:21] op_sel_hi:[1,0,1]
	s_waitcnt lgkmcnt(0)
	v_xor_b32_e32 v20, 0x80000000, v27
	v_pk_add_f32 v[6:7], v[8:9], v[6:7] neg_lo:[0,1] neg_hi:[0,1]
	v_pk_mul_f32 v[8:9], v[12:13], v[22:23] op_sel:[0,1] op_sel_hi:[0,0] neg_lo:[0,1]
	v_mov_b32_e32 v21, v26
	v_pk_fma_f32 v[8:9], v[22:23], v[30:31], v[8:9] op_sel_hi:[1,0,1]
	v_pk_mul_f32 v[20:21], v[34:35], v[20:21] op_sel_hi:[0,1]
	v_pk_add_f32 v[8:9], v[28:29], v[8:9] neg_lo:[0,1] neg_hi:[0,1]
	v_pk_fma_f32 v[20:21], v[26:27], v[32:33], v[20:21] op_sel_hi:[1,0,1]
	s_nop 0
	v_pk_add_f32 v[8:9], v[8:9], v[20:21] neg_lo:[0,1] neg_hi:[0,1]
	v_pk_add_f32 v[20:21], v[10:11], 0 neg_lo:[1,1] neg_hi:[1,1]
	s_nop 0
	v_pk_mov_b32 v[20:21], v[10:11], v[20:21] op_sel:[1,0]
	s_nop 0
	v_pk_mul_f32 v[12:13], v[12:13], v[20:21] op_sel_hi:[0,1]
	v_pk_fma_f32 v[10:11], v[10:11], v[30:31], v[12:13] op_sel_hi:[1,0,1] neg_lo:[1,0,0] neg_hi:[1,0,0]
	v_pk_add_f32 v[12:13], v[24:25], 0 neg_lo:[1,1] neg_hi:[1,1]
	s_nop 0
	v_pk_mov_b32 v[12:13], v[24:25], v[12:13] op_sel:[1,0]
	s_nop 0
	v_pk_mul_f32 v[12:13], v[34:35], v[12:13] op_sel_hi:[0,1]
	v_pk_fma_f32 v[12:13], v[24:25], v[32:33], v[12:13] op_sel_hi:[1,0,1] neg_lo:[1,0,0] neg_hi:[1,0,0]
.LBB49_8:
	s_or_b64 exec, exec, s[4:5]
	s_barrier
	s_and_saveexec_b64 s[4:5], s[2:3]
	s_cbranch_execz .LBB49_10
; %bb.9:
	ds_write_b64 v18, v[6:7]
	ds_write_b64 v15, v[8:9]
	;; [unrolled: 1-line block ×4, first 2 shown]
.LBB49_10:
	s_or_b64 exec, exec, s[4:5]
	s_waitcnt lgkmcnt(0)
	s_barrier
	s_and_saveexec_b64 s[4:5], s[2:3]
	s_cbranch_execz .LBB49_12
; %bb.11:
	v_sub_u32_e64 v6, v0, 2 clamp
	v_lshlrev_b32_e32 v19, 3, v6
	ds_read2st64_b64 v[10:13], v19 offset0:20 offset1:21
	ds_read_b64 v[20:21], v16
	v_min_u32_e32 v6, 61, v0
	v_lshlrev_b32_e32 v6, 3, v6
	v_add_u32_e32 v31, 16, v6
	s_waitcnt lgkmcnt(1)
	v_mul_f32_e32 v7, v13, v13
	v_fmac_f32_e32 v7, v12, v12
	v_div_scale_f32 v8, s[6:7], v7, v7, 1.0
	v_rcp_f32_e32 v9, v8
	v_div_scale_f32 v22, vcc, 1.0, v7, 1.0
	v_fma_f32 v23, -v8, v9, 1.0
	v_fmac_f32_e32 v9, v23, v9
	v_mul_f32_e32 v23, v22, v9
	v_fma_f32 v24, -v8, v23, v22
	v_fmac_f32_e32 v23, v24, v9
	v_fma_f32 v8, -v8, v23, v22
	v_div_fmas_f32 v8, v8, v9, v23
	v_div_fixup_f32 v22, v8, v7, 1.0
	ds_read2st64_b64 v[6:9], v31 offset0:20 offset1:21
	ds_read_b64 v[24:25], v17
	ds_read_b64 v[26:27], v18
	;; [unrolled: 1-line block ×3, first 2 shown]
	s_waitcnt lgkmcnt(4)
	v_mul_f32_e32 v23, v13, v21
	v_fmac_f32_e32 v23, v20, v12
	v_mul_f32_e32 v30, v22, v23
	s_waitcnt lgkmcnt(3)
	v_mul_f32_e32 v23, v9, v9
	v_fmac_f32_e32 v23, v8, v8
	v_div_scale_f32 v32, s[6:7], v23, v23, 1.0
	v_rcp_f32_e32 v33, v32
	v_mul_f32_e64 v13, v13, -v20
	v_fmac_f32_e32 v13, v21, v12
	v_mul_f32_e32 v12, v13, v22
	v_fma_f32 v13, -v32, v33, 1.0
	v_fmac_f32_e32 v33, v13, v33
	v_div_scale_f32 v13, vcc, 1.0, v23, 1.0
	v_mul_f32_e32 v20, v13, v33
	v_fma_f32 v21, -v32, v20, v13
	v_fmac_f32_e32 v20, v21, v33
	v_fma_f32 v13, -v32, v20, v13
	v_div_fmas_f32 v13, v13, v33, v20
	v_div_fixup_f32 v13, v13, v23, 1.0
	ds_read2st64_b64 v[20:23], v19 offset0:22 offset1:24
	s_waitcnt lgkmcnt(3)
	v_mul_f32_e32 v32, v9, v25
	v_mul_f32_e64 v9, v9, -v24
	v_fmac_f32_e32 v9, v25, v8
	v_fmac_f32_e32 v32, v24, v8
	v_mul_f32_e32 v34, v9, v13
	s_waitcnt lgkmcnt(0)
	v_pk_mul_f32 v[8:9], v[12:13], v[20:21] op_sel:[0,1] op_sel_hi:[0,0] neg_lo:[0,1]
	v_pk_fma_f32 v[8:9], v[20:21], v[30:31], v[8:9] op_sel_hi:[1,0,1]
	v_mul_f32_e32 v32, v13, v32
	v_pk_add_f32 v[8:9], v[26:27], v[8:9] neg_lo:[0,1] neg_hi:[0,1]
	ds_read2st64_b64 v[24:27], v31 offset0:22 offset1:24
	v_pk_mul_f32 v[20:21], v[34:35], v[6:7] op_sel:[0,1] op_sel_hi:[0,0] neg_lo:[0,1]
	v_pk_fma_f32 v[6:7], v[6:7], v[32:33], v[20:21] op_sel_hi:[1,0,1]
	s_waitcnt lgkmcnt(0)
	v_pk_mul_f32 v[20:21], v[34:35], v[26:27] op_sel:[0,1] op_sel_hi:[0,0] neg_lo:[0,1]
	v_pk_add_f32 v[6:7], v[8:9], v[6:7] neg_lo:[0,1] neg_hi:[0,1]
	v_pk_mul_f32 v[8:9], v[12:13], v[22:23] op_sel:[0,1] op_sel_hi:[0,0] neg_lo:[0,1]
	v_pk_fma_f32 v[8:9], v[22:23], v[30:31], v[8:9] op_sel_hi:[1,0,1]
	v_pk_fma_f32 v[20:21], v[26:27], v[32:33], v[20:21] op_sel_hi:[1,0,1]
	v_pk_add_f32 v[8:9], v[28:29], v[8:9] neg_lo:[0,1] neg_hi:[0,1]
	s_nop 0
	v_pk_add_f32 v[8:9], v[8:9], v[20:21] neg_lo:[0,1] neg_hi:[0,1]
	v_pk_add_f32 v[20:21], v[10:11], 0 neg_lo:[1,1] neg_hi:[1,1]
	s_nop 0
	v_pk_mov_b32 v[20:21], v[10:11], v[20:21] op_sel:[1,0]
	s_nop 0
	v_pk_mul_f32 v[12:13], v[12:13], v[20:21] op_sel_hi:[0,1]
	v_pk_fma_f32 v[10:11], v[10:11], v[30:31], v[12:13] op_sel_hi:[1,0,1] neg_lo:[1,0,0] neg_hi:[1,0,0]
	v_pk_add_f32 v[12:13], v[24:25], 0 neg_lo:[1,1] neg_hi:[1,1]
	s_nop 0
	v_pk_mov_b32 v[12:13], v[24:25], v[12:13] op_sel:[1,0]
	s_nop 0
	v_pk_mul_f32 v[12:13], v[34:35], v[12:13] op_sel_hi:[0,1]
	v_pk_fma_f32 v[12:13], v[24:25], v[32:33], v[12:13] op_sel_hi:[1,0,1] neg_lo:[1,0,0] neg_hi:[1,0,0]
.LBB49_12:
	s_or_b64 exec, exec, s[4:5]
	s_barrier
	s_and_saveexec_b64 s[4:5], s[2:3]
	s_cbranch_execz .LBB49_14
; %bb.13:
	ds_write_b64 v18, v[6:7]
	ds_write_b64 v15, v[8:9]
	;; [unrolled: 1-line block ×4, first 2 shown]
.LBB49_14:
	s_or_b64 exec, exec, s[4:5]
	s_waitcnt lgkmcnt(0)
	s_barrier
	s_and_saveexec_b64 s[4:5], s[2:3]
	s_cbranch_execz .LBB49_16
; %bb.15:
	v_sub_u32_e64 v6, v0, 4 clamp
	v_lshlrev_b32_e32 v19, 3, v6
	ds_read2st64_b64 v[10:13], v19 offset0:20 offset1:21
	ds_read_b64 v[20:21], v16
	v_min_u32_e32 v6, 59, v0
	v_lshlrev_b32_e32 v6, 3, v6
	v_add_u32_e32 v31, 32, v6
	s_waitcnt lgkmcnt(1)
	v_mul_f32_e32 v7, v13, v13
	v_fmac_f32_e32 v7, v12, v12
	v_div_scale_f32 v8, s[6:7], v7, v7, 1.0
	v_rcp_f32_e32 v9, v8
	v_div_scale_f32 v22, vcc, 1.0, v7, 1.0
	v_fma_f32 v23, -v8, v9, 1.0
	v_fmac_f32_e32 v9, v23, v9
	v_mul_f32_e32 v23, v22, v9
	v_fma_f32 v24, -v8, v23, v22
	v_fmac_f32_e32 v23, v24, v9
	v_fma_f32 v8, -v8, v23, v22
	v_div_fmas_f32 v8, v8, v9, v23
	v_div_fixup_f32 v22, v8, v7, 1.0
	ds_read2st64_b64 v[6:9], v31 offset0:20 offset1:21
	ds_read_b64 v[24:25], v17
	ds_read_b64 v[26:27], v18
	;; [unrolled: 1-line block ×3, first 2 shown]
	s_waitcnt lgkmcnt(4)
	v_mul_f32_e32 v23, v13, v21
	v_fmac_f32_e32 v23, v20, v12
	v_mul_f32_e32 v30, v22, v23
	s_waitcnt lgkmcnt(3)
	v_mul_f32_e32 v23, v9, v9
	v_fmac_f32_e32 v23, v8, v8
	v_div_scale_f32 v32, s[6:7], v23, v23, 1.0
	v_rcp_f32_e32 v33, v32
	v_mul_f32_e64 v13, v13, -v20
	v_fmac_f32_e32 v13, v21, v12
	v_mul_f32_e32 v12, v13, v22
	v_fma_f32 v13, -v32, v33, 1.0
	v_fmac_f32_e32 v33, v13, v33
	v_div_scale_f32 v13, vcc, 1.0, v23, 1.0
	v_mul_f32_e32 v20, v13, v33
	v_fma_f32 v21, -v32, v20, v13
	v_fmac_f32_e32 v20, v21, v33
	v_fma_f32 v13, -v32, v20, v13
	v_div_fmas_f32 v13, v13, v33, v20
	v_div_fixup_f32 v13, v13, v23, 1.0
	ds_read2st64_b64 v[20:23], v19 offset0:22 offset1:24
	s_waitcnt lgkmcnt(3)
	v_mul_f32_e32 v32, v9, v25
	v_mul_f32_e64 v9, v9, -v24
	v_fmac_f32_e32 v9, v25, v8
	v_fmac_f32_e32 v32, v24, v8
	v_mul_f32_e32 v34, v9, v13
	s_waitcnt lgkmcnt(0)
	v_pk_mul_f32 v[8:9], v[12:13], v[20:21] op_sel:[0,1] op_sel_hi:[0,0] neg_lo:[0,1]
	v_pk_fma_f32 v[8:9], v[20:21], v[30:31], v[8:9] op_sel_hi:[1,0,1]
	v_mul_f32_e32 v32, v13, v32
	v_pk_add_f32 v[8:9], v[26:27], v[8:9] neg_lo:[0,1] neg_hi:[0,1]
	ds_read2st64_b64 v[24:27], v31 offset0:22 offset1:24
	v_pk_mul_f32 v[20:21], v[34:35], v[6:7] op_sel:[0,1] op_sel_hi:[0,0] neg_lo:[0,1]
	v_pk_fma_f32 v[6:7], v[6:7], v[32:33], v[20:21] op_sel_hi:[1,0,1]
	s_waitcnt lgkmcnt(0)
	v_pk_mul_f32 v[20:21], v[34:35], v[26:27] op_sel:[0,1] op_sel_hi:[0,0] neg_lo:[0,1]
	v_pk_add_f32 v[6:7], v[8:9], v[6:7] neg_lo:[0,1] neg_hi:[0,1]
	v_pk_mul_f32 v[8:9], v[12:13], v[22:23] op_sel:[0,1] op_sel_hi:[0,0] neg_lo:[0,1]
	v_pk_fma_f32 v[8:9], v[22:23], v[30:31], v[8:9] op_sel_hi:[1,0,1]
	v_pk_fma_f32 v[20:21], v[26:27], v[32:33], v[20:21] op_sel_hi:[1,0,1]
	v_pk_add_f32 v[8:9], v[28:29], v[8:9] neg_lo:[0,1] neg_hi:[0,1]
	s_nop 0
	v_pk_add_f32 v[8:9], v[8:9], v[20:21] neg_lo:[0,1] neg_hi:[0,1]
	v_pk_add_f32 v[20:21], v[10:11], 0 neg_lo:[1,1] neg_hi:[1,1]
	s_nop 0
	v_pk_mov_b32 v[20:21], v[10:11], v[20:21] op_sel:[1,0]
	s_nop 0
	v_pk_mul_f32 v[12:13], v[12:13], v[20:21] op_sel_hi:[0,1]
	v_pk_fma_f32 v[10:11], v[10:11], v[30:31], v[12:13] op_sel_hi:[1,0,1] neg_lo:[1,0,0] neg_hi:[1,0,0]
	v_pk_add_f32 v[12:13], v[24:25], 0 neg_lo:[1,1] neg_hi:[1,1]
	s_nop 0
	v_pk_mov_b32 v[12:13], v[24:25], v[12:13] op_sel:[1,0]
	s_nop 0
	v_pk_mul_f32 v[12:13], v[34:35], v[12:13] op_sel_hi:[0,1]
	v_pk_fma_f32 v[12:13], v[24:25], v[32:33], v[12:13] op_sel_hi:[1,0,1] neg_lo:[1,0,0] neg_hi:[1,0,0]
.LBB49_16:
	s_or_b64 exec, exec, s[4:5]
	s_barrier
	s_and_saveexec_b64 s[4:5], s[2:3]
	s_cbranch_execz .LBB49_18
; %bb.17:
	ds_write_b64 v18, v[6:7]
	ds_write_b64 v15, v[8:9]
	;; [unrolled: 1-line block ×4, first 2 shown]
.LBB49_18:
	s_or_b64 exec, exec, s[4:5]
	s_waitcnt lgkmcnt(0)
	s_barrier
	s_and_saveexec_b64 s[4:5], s[2:3]
	s_cbranch_execz .LBB49_20
; %bb.19:
	v_sub_u32_e64 v6, v0, 8 clamp
	v_lshlrev_b32_e32 v19, 3, v6
	ds_read2st64_b64 v[10:13], v19 offset0:20 offset1:21
	ds_read_b64 v[20:21], v16
	v_min_u32_e32 v6, 55, v0
	v_lshlrev_b32_e32 v6, 3, v6
	v_add_u32_e32 v31, 64, v6
	s_waitcnt lgkmcnt(1)
	v_mul_f32_e32 v7, v13, v13
	v_fmac_f32_e32 v7, v12, v12
	v_div_scale_f32 v8, s[6:7], v7, v7, 1.0
	v_rcp_f32_e32 v9, v8
	v_div_scale_f32 v22, vcc, 1.0, v7, 1.0
	v_fma_f32 v23, -v8, v9, 1.0
	v_fmac_f32_e32 v9, v23, v9
	v_mul_f32_e32 v23, v22, v9
	v_fma_f32 v24, -v8, v23, v22
	v_fmac_f32_e32 v23, v24, v9
	v_fma_f32 v8, -v8, v23, v22
	v_div_fmas_f32 v8, v8, v9, v23
	v_div_fixup_f32 v22, v8, v7, 1.0
	ds_read2st64_b64 v[6:9], v31 offset0:20 offset1:21
	ds_read_b64 v[24:25], v17
	ds_read_b64 v[26:27], v18
	ds_read_b64 v[28:29], v15
	s_waitcnt lgkmcnt(4)
	v_mul_f32_e32 v23, v13, v21
	v_fmac_f32_e32 v23, v20, v12
	v_mul_f32_e32 v30, v22, v23
	s_waitcnt lgkmcnt(3)
	v_mul_f32_e32 v23, v9, v9
	v_fmac_f32_e32 v23, v8, v8
	v_div_scale_f32 v32, s[6:7], v23, v23, 1.0
	v_rcp_f32_e32 v33, v32
	v_mul_f32_e64 v13, v13, -v20
	v_fmac_f32_e32 v13, v21, v12
	v_mul_f32_e32 v12, v13, v22
	v_fma_f32 v13, -v32, v33, 1.0
	v_fmac_f32_e32 v33, v13, v33
	v_div_scale_f32 v13, vcc, 1.0, v23, 1.0
	v_mul_f32_e32 v20, v13, v33
	v_fma_f32 v21, -v32, v20, v13
	v_fmac_f32_e32 v20, v21, v33
	v_fma_f32 v13, -v32, v20, v13
	v_div_fmas_f32 v13, v13, v33, v20
	v_div_fixup_f32 v13, v13, v23, 1.0
	ds_read2st64_b64 v[20:23], v19 offset0:22 offset1:24
	s_waitcnt lgkmcnt(3)
	v_mul_f32_e32 v32, v9, v25
	v_mul_f32_e64 v9, v9, -v24
	v_fmac_f32_e32 v9, v25, v8
	v_fmac_f32_e32 v32, v24, v8
	v_mul_f32_e32 v34, v9, v13
	s_waitcnt lgkmcnt(0)
	v_pk_mul_f32 v[8:9], v[12:13], v[20:21] op_sel:[0,1] op_sel_hi:[0,0] neg_lo:[0,1]
	v_pk_fma_f32 v[8:9], v[20:21], v[30:31], v[8:9] op_sel_hi:[1,0,1]
	v_mul_f32_e32 v32, v13, v32
	v_pk_add_f32 v[8:9], v[26:27], v[8:9] neg_lo:[0,1] neg_hi:[0,1]
	ds_read2st64_b64 v[24:27], v31 offset0:22 offset1:24
	v_pk_mul_f32 v[20:21], v[34:35], v[6:7] op_sel:[0,1] op_sel_hi:[0,0] neg_lo:[0,1]
	v_pk_fma_f32 v[6:7], v[6:7], v[32:33], v[20:21] op_sel_hi:[1,0,1]
	s_waitcnt lgkmcnt(0)
	v_pk_mul_f32 v[20:21], v[34:35], v[26:27] op_sel:[0,1] op_sel_hi:[0,0] neg_lo:[0,1]
	v_pk_add_f32 v[6:7], v[8:9], v[6:7] neg_lo:[0,1] neg_hi:[0,1]
	v_pk_mul_f32 v[8:9], v[12:13], v[22:23] op_sel:[0,1] op_sel_hi:[0,0] neg_lo:[0,1]
	v_pk_fma_f32 v[8:9], v[22:23], v[30:31], v[8:9] op_sel_hi:[1,0,1]
	v_pk_fma_f32 v[20:21], v[26:27], v[32:33], v[20:21] op_sel_hi:[1,0,1]
	v_pk_add_f32 v[8:9], v[28:29], v[8:9] neg_lo:[0,1] neg_hi:[0,1]
	s_nop 0
	v_pk_add_f32 v[8:9], v[8:9], v[20:21] neg_lo:[0,1] neg_hi:[0,1]
	v_pk_add_f32 v[20:21], v[10:11], 0 neg_lo:[1,1] neg_hi:[1,1]
	s_nop 0
	v_pk_mov_b32 v[20:21], v[10:11], v[20:21] op_sel:[1,0]
	s_nop 0
	v_pk_mul_f32 v[12:13], v[12:13], v[20:21] op_sel_hi:[0,1]
	v_pk_fma_f32 v[10:11], v[10:11], v[30:31], v[12:13] op_sel_hi:[1,0,1] neg_lo:[1,0,0] neg_hi:[1,0,0]
	v_pk_add_f32 v[12:13], v[24:25], 0 neg_lo:[1,1] neg_hi:[1,1]
	s_nop 0
	v_pk_mov_b32 v[12:13], v[24:25], v[12:13] op_sel:[1,0]
	s_nop 0
	v_pk_mul_f32 v[12:13], v[34:35], v[12:13] op_sel_hi:[0,1]
	v_pk_fma_f32 v[12:13], v[24:25], v[32:33], v[12:13] op_sel_hi:[1,0,1] neg_lo:[1,0,0] neg_hi:[1,0,0]
.LBB49_20:
	s_or_b64 exec, exec, s[4:5]
	s_barrier
	s_and_saveexec_b64 s[4:5], s[2:3]
	s_cbranch_execz .LBB49_22
; %bb.21:
	ds_write_b64 v18, v[6:7]
	ds_write_b64 v15, v[8:9]
	;; [unrolled: 1-line block ×4, first 2 shown]
.LBB49_22:
	s_or_b64 exec, exec, s[4:5]
	s_waitcnt lgkmcnt(0)
	s_barrier
	s_and_saveexec_b64 s[4:5], s[2:3]
	s_cbranch_execz .LBB49_24
; %bb.23:
	v_sub_u32_e64 v6, v0, 16 clamp
	v_lshlrev_b32_e32 v19, 3, v6
	ds_read2st64_b64 v[10:13], v19 offset0:20 offset1:21
	ds_read_b64 v[20:21], v16
	v_min_u32_e32 v6, 47, v0
	v_lshlrev_b32_e32 v6, 3, v6
	v_add_u32_e32 v31, 0x80, v6
	s_waitcnt lgkmcnt(1)
	v_mul_f32_e32 v7, v13, v13
	v_fmac_f32_e32 v7, v12, v12
	v_div_scale_f32 v8, s[6:7], v7, v7, 1.0
	v_rcp_f32_e32 v9, v8
	v_div_scale_f32 v22, vcc, 1.0, v7, 1.0
	v_fma_f32 v23, -v8, v9, 1.0
	v_fmac_f32_e32 v9, v23, v9
	v_mul_f32_e32 v23, v22, v9
	v_fma_f32 v24, -v8, v23, v22
	v_fmac_f32_e32 v23, v24, v9
	v_fma_f32 v8, -v8, v23, v22
	v_div_fmas_f32 v8, v8, v9, v23
	v_div_fixup_f32 v22, v8, v7, 1.0
	ds_read2st64_b64 v[6:9], v31 offset0:20 offset1:21
	ds_read_b64 v[24:25], v17
	ds_read_b64 v[26:27], v18
	;; [unrolled: 1-line block ×3, first 2 shown]
	s_waitcnt lgkmcnt(4)
	v_mul_f32_e32 v23, v13, v21
	v_fmac_f32_e32 v23, v20, v12
	v_mul_f32_e32 v30, v22, v23
	s_waitcnt lgkmcnt(3)
	v_mul_f32_e32 v23, v9, v9
	v_fmac_f32_e32 v23, v8, v8
	v_div_scale_f32 v32, s[6:7], v23, v23, 1.0
	v_rcp_f32_e32 v33, v32
	v_mul_f32_e64 v13, v13, -v20
	v_fmac_f32_e32 v13, v21, v12
	v_mul_f32_e32 v12, v13, v22
	v_fma_f32 v13, -v32, v33, 1.0
	v_fmac_f32_e32 v33, v13, v33
	v_div_scale_f32 v13, vcc, 1.0, v23, 1.0
	v_mul_f32_e32 v20, v13, v33
	v_fma_f32 v21, -v32, v20, v13
	v_fmac_f32_e32 v20, v21, v33
	v_fma_f32 v13, -v32, v20, v13
	v_div_fmas_f32 v13, v13, v33, v20
	v_div_fixup_f32 v13, v13, v23, 1.0
	ds_read2st64_b64 v[20:23], v19 offset0:22 offset1:24
	s_waitcnt lgkmcnt(3)
	v_mul_f32_e32 v32, v9, v25
	v_mul_f32_e64 v9, v9, -v24
	v_fmac_f32_e32 v9, v25, v8
	v_fmac_f32_e32 v32, v24, v8
	v_mul_f32_e32 v34, v9, v13
	s_waitcnt lgkmcnt(0)
	v_pk_mul_f32 v[8:9], v[12:13], v[20:21] op_sel:[0,1] op_sel_hi:[0,0] neg_lo:[0,1]
	v_pk_fma_f32 v[8:9], v[20:21], v[30:31], v[8:9] op_sel_hi:[1,0,1]
	v_xor_b32_e32 v20, 0x80000000, v7
	v_pk_add_f32 v[8:9], v[26:27], v[8:9] neg_lo:[0,1] neg_hi:[0,1]
	ds_read2st64_b64 v[24:27], v31 offset0:22 offset1:24
	v_mov_b32_e32 v21, v6
	v_mul_f32_e32 v32, v13, v32
	v_pk_mul_f32 v[20:21], v[34:35], v[20:21] op_sel_hi:[0,1]
	v_pk_fma_f32 v[6:7], v[6:7], v[32:33], v[20:21] op_sel_hi:[1,0,1]
	s_waitcnt lgkmcnt(0)
	v_xor_b32_e32 v20, 0x80000000, v27
	v_pk_add_f32 v[6:7], v[8:9], v[6:7] neg_lo:[0,1] neg_hi:[0,1]
	v_pk_mul_f32 v[8:9], v[12:13], v[22:23] op_sel:[0,1] op_sel_hi:[0,0] neg_lo:[0,1]
	v_mov_b32_e32 v21, v26
	v_pk_fma_f32 v[8:9], v[22:23], v[30:31], v[8:9] op_sel_hi:[1,0,1]
	v_pk_mul_f32 v[20:21], v[34:35], v[20:21] op_sel_hi:[0,1]
	v_pk_add_f32 v[8:9], v[28:29], v[8:9] neg_lo:[0,1] neg_hi:[0,1]
	v_pk_fma_f32 v[20:21], v[26:27], v[32:33], v[20:21] op_sel_hi:[1,0,1]
	s_nop 0
	v_pk_add_f32 v[8:9], v[8:9], v[20:21] neg_lo:[0,1] neg_hi:[0,1]
	v_pk_add_f32 v[20:21], v[10:11], 0 neg_lo:[1,1] neg_hi:[1,1]
	s_nop 0
	v_pk_mov_b32 v[20:21], v[10:11], v[20:21] op_sel:[1,0]
	s_nop 0
	v_pk_mul_f32 v[12:13], v[12:13], v[20:21] op_sel_hi:[0,1]
	v_pk_fma_f32 v[10:11], v[10:11], v[30:31], v[12:13] op_sel_hi:[1,0,1] neg_lo:[1,0,0] neg_hi:[1,0,0]
	v_pk_add_f32 v[12:13], v[24:25], 0 neg_lo:[1,1] neg_hi:[1,1]
	s_nop 0
	v_pk_mov_b32 v[12:13], v[24:25], v[12:13] op_sel:[1,0]
	s_nop 0
	v_pk_mul_f32 v[12:13], v[34:35], v[12:13] op_sel_hi:[0,1]
	v_pk_fma_f32 v[12:13], v[24:25], v[32:33], v[12:13] op_sel_hi:[1,0,1] neg_lo:[1,0,0] neg_hi:[1,0,0]
.LBB49_24:
	s_or_b64 exec, exec, s[4:5]
	s_barrier
	s_and_saveexec_b64 s[4:5], s[2:3]
	s_cbranch_execz .LBB49_26
; %bb.25:
	ds_write_b64 v18, v[6:7]
	ds_write_b64 v15, v[8:9]
	;; [unrolled: 1-line block ×4, first 2 shown]
.LBB49_26:
	s_or_b64 exec, exec, s[4:5]
	v_cmp_gt_u32_e32 vcc, 32, v0
	s_waitcnt lgkmcnt(0)
	s_barrier
	s_and_saveexec_b64 s[4:5], vcc
	s_cbranch_execz .LBB49_28
; %bb.27:
	ds_read2_b64 v[6:9], v18 offset1:32
	ds_read_b64 v[10:11], v17
	ds_read_b32 v12, v15
	ds_read_b64 v[18:19], v15
	ds_read_b64 v[16:17], v16 offset:256
	s_waitcnt lgkmcnt(4)
	v_xor_b32_e32 v20, 0x80000000, v9
	s_waitcnt lgkmcnt(3)
	v_xor_b32_e32 v22, 0x80000000, v11
	v_mov_b32_e32 v21, v8
	v_mov_b32_e32 v23, v10
	v_pk_mul_f32 v[24:25], v[6:7], v[20:21] op_sel:[1,0]
	s_waitcnt lgkmcnt(0)
	v_pk_mul_f32 v[26:27], v[16:17], v[22:23] op_sel:[1,0]
	v_pk_fma_f32 v[24:25], v[8:9], v[6:7], v[24:25] op_sel_hi:[1,0,1]
	v_pk_fma_f32 v[26:27], v[10:11], v[16:17], v[26:27] op_sel_hi:[1,0,1]
	s_nop 0
	v_pk_add_f32 v[24:25], v[24:25], v[26:27] neg_lo:[0,1] neg_hi:[0,1]
	ds_read2_b32 v[26:27], v15 offset0:1 offset1:64
	ds_read_b32 v28, v15 offset:260
	v_mul_f32_e32 v13, v25, v25
	v_fmac_f32_e32 v13, v24, v24
	v_div_scale_f32 v29, s[6:7], v13, v13, 1.0
	v_rcp_f32_e32 v30, v29
	s_waitcnt lgkmcnt(1)
	v_pk_mul_f32 v[20:21], v[26:27], v[20:21] op_sel_hi:[0,1]
	v_fma_f32 v31, -v29, v30, 1.0
	v_fmac_f32_e32 v30, v31, v30
	v_div_scale_f32 v31, vcc, 1.0, v13, 1.0
	v_mul_f32_e32 v32, v31, v30
	v_fma_f32 v33, -v29, v32, v31
	v_fmac_f32_e32 v32, v33, v30
	v_fma_f32 v29, -v29, v32, v31
	v_div_fmas_f32 v29, v29, v30, v32
	v_div_fixup_f32 v13, v29, v13, 1.0
	v_fma_f32 v29, 0, v25, v24
	v_fma_f32 v24, v24, 0, -v25
	v_mul_f32_e32 v30, v29, v13
	v_mul_f32_e32 v24, v24, v13
	v_pk_fma_f32 v[8:9], v[8:9], v[12:13], v[20:21] op_sel_hi:[1,0,1]
	ds_read_b64 v[12:13], v15 offset:256
	s_waitcnt lgkmcnt(1)
	v_pk_mul_f32 v[20:21], v[28:29], v[22:23] op_sel_hi:[0,1]
	v_mov_b32_e32 v22, v27
	v_pk_fma_f32 v[10:11], v[10:11], v[22:23], v[20:21] op_sel_hi:[1,0,1]
	s_nop 0
	v_pk_add_f32 v[8:9], v[8:9], v[10:11] neg_lo:[0,1] neg_hi:[0,1]
	s_nop 0
	v_xor_b32_e32 v10, 0x80000000, v9
	v_mov_b32_e32 v11, v8
	v_pk_mul_f32 v[10:11], v[24:25], v[10:11] op_sel_hi:[0,1]
	v_pk_fma_f32 v[8:9], v[8:9], v[30:31], v[10:11] op_sel_hi:[1,0,1]
	s_waitcnt lgkmcnt(0)
	v_xor_b32_e32 v10, 0x80000000, v13
	v_mov_b32_e32 v11, v12
	v_pk_mul_f32 v[10:11], v[6:7], v[10:11] op_sel:[1,0]
	s_nop 0
	v_pk_fma_f32 v[6:7], v[12:13], v[6:7], v[10:11] op_sel_hi:[1,0,1]
	v_xor_b32_e32 v10, 0x80000000, v19
	v_mov_b32_e32 v11, v18
	v_pk_mul_f32 v[10:11], v[16:17], v[10:11] op_sel:[1,0]
	s_nop 0
	v_pk_fma_f32 v[10:11], v[18:19], v[16:17], v[10:11] op_sel_hi:[1,0,1]
	s_nop 0
	v_pk_add_f32 v[6:7], v[6:7], v[10:11] neg_lo:[0,1] neg_hi:[0,1]
	s_nop 0
	v_xor_b32_e32 v10, 0x80000000, v7
	v_mov_b32_e32 v11, v6
	v_pk_mul_f32 v[10:11], v[24:25], v[10:11] op_sel_hi:[0,1]
	v_pk_fma_f32 v[6:7], v[6:7], v[30:31], v[10:11] op_sel_hi:[1,0,1]
	v_add_u32_e32 v10, 0x2800, v14
	ds_write2_b64 v10, v[8:9], v[6:7] offset0:192 offset1:224
.LBB49_28:
	s_or_b64 exec, exec, s[4:5]
	s_waitcnt lgkmcnt(0)
	s_barrier
	s_and_saveexec_b64 s[4:5], s[2:3]
	s_cbranch_execz .LBB49_30
; %bb.29:
	ds_read_b64 v[6:7], v14 offset:11776
	s_waitcnt lgkmcnt(0)
	ds_write_b64 v1, v[6:7] offset:6136
.LBB49_30:
	s_or_b64 exec, exec, s[4:5]
	s_waitcnt lgkmcnt(0)
	s_barrier
	s_and_saveexec_b64 s[4:5], s[2:3]
	s_cbranch_execz .LBB49_36
; %bb.31:
	v_lshlrev_b32_e32 v1, 2, v0
	v_mov_b32_e32 v6, 0x2000
	v_cmp_ne_u32_e32 vcc, 0, v0
	v_lshl_or_b32 v8, v0, 5, v6
	v_lshlrev_b32_e32 v1, 3, v1
                                        ; implicit-def: $vgpr6_vgpr7
	s_and_saveexec_b64 s[2:3], vcc
	s_xor_b64 s[2:3], exec, s[2:3]
	s_cbranch_execz .LBB49_33
; %bb.32:
	v_add_u32_e32 v6, 8, v1
	ds_read2st64_b64 v[10:13], v6 offset1:4
	v_add_u32_e32 v6, 0x1000, v1
	ds_read_b64 v[16:17], v8 offset:8
	ds_read_b64 v[18:19], v1 offset:6168
	ds_read2_b64 v[6:9], v6 offset0:1 offset1:255
	s_waitcnt lgkmcnt(3)
	v_mul_f32_e32 v15, v13, v13
	v_fmac_f32_e32 v15, v12, v12
	v_div_scale_f32 v20, s[6:7], v15, v15, 1.0
	v_rcp_f32_e32 v21, v20
	v_div_scale_f32 v22, vcc, 1.0, v15, 1.0
	v_fma_f32 v23, -v20, v21, 1.0
	v_fmac_f32_e32 v21, v23, v21
	v_mul_f32_e32 v23, v22, v21
	v_fma_f32 v24, -v20, v23, v22
	v_fmac_f32_e32 v23, v24, v21
	v_fma_f32 v20, -v20, v23, v22
	v_div_fmas_f32 v20, v20, v21, v23
	s_waitcnt lgkmcnt(0)
	v_pk_mul_f32 v[22:23], v[8:9], v[10:11] op_sel:[1,1] op_sel_hi:[1,0] neg_lo:[0,1]
	v_div_fixup_f32 v20, v20, v15, 1.0
	v_pk_fma_f32 v[8:9], v[10:11], v[8:9], v[22:23] op_sel_hi:[1,0,1]
	v_xor_b32_e32 v10, 0x80000000, v7
	v_mov_b32_e32 v11, v6
	v_pk_mul_f32 v[10:11], v[18:19], v[10:11] op_sel:[1,0]
	v_pk_add_f32 v[8:9], v[16:17], v[8:9] neg_lo:[0,1] neg_hi:[0,1]
	v_pk_fma_f32 v[6:7], v[6:7], v[18:19], v[10:11] op_sel_hi:[1,0,1]
	s_nop 0
	v_pk_add_f32 v[6:7], v[8:9], v[6:7] neg_lo:[0,1] neg_hi:[0,1]
	s_nop 0
	v_xor_b32_e32 v9, 0x80000000, v6
	v_mov_b32_e32 v8, v7
	v_pk_mul_f32 v[8:9], v[12:13], v[8:9] op_sel:[1,0]
	s_nop 0
	v_pk_fma_f32 v[6:7], v[6:7], v[12:13], v[8:9] op_sel_hi:[1,0,1]
                                        ; implicit-def: $vgpr8
	s_nop 0
	v_pk_mul_f32 v[6:7], v[20:21], v[6:7] op_sel_hi:[0,1]
.LBB49_33:
	s_andn2_saveexec_b64 s[2:3], s[2:3]
	s_cbranch_execz .LBB49_35
; %bb.34:
	v_add_u32_e32 v6, 8, v1
	ds_read2st64_b64 v[10:13], v6 offset0:4 offset1:8
	ds_read_b64 v[6:7], v1 offset:6168
	ds_read_b64 v[8:9], v8 offset:8
	s_waitcnt lgkmcnt(2)
	v_mul_f32_e32 v15, v11, v11
	v_fmac_f32_e32 v15, v10, v10
	v_div_scale_f32 v17, s[6:7], v15, v15, 1.0
	v_rcp_f32_e32 v18, v17
	v_div_scale_f32 v19, vcc, 1.0, v15, 1.0
	v_xor_b32_e32 v16, 0x80000000, v13
	v_fma_f32 v20, -v17, v18, 1.0
	v_fmac_f32_e32 v18, v20, v18
	v_mul_f32_e32 v20, v19, v18
	v_fma_f32 v21, -v17, v20, v19
	v_fmac_f32_e32 v20, v21, v18
	v_fma_f32 v17, -v17, v20, v19
	v_div_fmas_f32 v17, v17, v18, v20
	v_div_fixup_f32 v18, v17, v15, 1.0
	v_mov_b32_e32 v17, v12
	s_waitcnt lgkmcnt(1)
	v_pk_mul_f32 v[16:17], v[6:7], v[16:17] op_sel:[1,0]
	s_nop 0
	v_pk_fma_f32 v[6:7], v[12:13], v[6:7], v[16:17] op_sel_hi:[1,0,1]
	s_waitcnt lgkmcnt(0)
	v_pk_add_f32 v[6:7], v[8:9], v[6:7] neg_lo:[0,1] neg_hi:[0,1]
	s_nop 0
	v_xor_b32_e32 v9, 0x80000000, v6
	v_mov_b32_e32 v8, v7
	v_pk_mul_f32 v[8:9], v[10:11], v[8:9] op_sel:[1,0]
	s_nop 0
	v_pk_fma_f32 v[6:7], v[6:7], v[10:11], v[8:9] op_sel_hi:[1,0,1]
	s_nop 0
	v_pk_mul_f32 v[6:7], v[18:19], v[6:7] op_sel_hi:[0,1]
.LBB49_35:
	s_or_b64 exec, exec, s[2:3]
	ds_write_b64 v1, v[6:7] offset:6152
.LBB49_36:
	s_or_b64 exec, exec, s[4:5]
	s_waitcnt lgkmcnt(0)
	s_barrier
	s_and_saveexec_b64 s[2:3], s[0:1]
	s_cbranch_execz .LBB49_42
; %bb.37:
	v_lshlrev_b32_e32 v1, 1, v0
	v_mov_b32_e32 v6, 0x2000
	v_cmp_ne_u32_e32 vcc, 0, v0
	v_lshl_or_b32 v7, v0, 4, v6
	v_lshlrev_b32_e32 v6, 3, v1
                                        ; implicit-def: $vgpr0_vgpr1
	s_and_saveexec_b64 s[0:1], vcc
	s_xor_b64 s[0:1], exec, s[0:1]
	s_cbranch_execz .LBB49_39
; %bb.38:
	ds_read2st64_b64 v[8:11], v6 offset1:4
	ds_read_b64 v[0:1], v7
	ds_read_b64 v[12:13], v6 offset:6152
	v_add_u32_e32 v15, 0x1000, v6
	ds_read2_b64 v[16:19], v15 offset1:255
	s_waitcnt lgkmcnt(3)
	v_mul_f32_e32 v7, v11, v11
	v_fmac_f32_e32 v7, v10, v10
	v_div_scale_f32 v20, s[4:5], v7, v7, 1.0
	v_rcp_f32_e32 v21, v20
	v_div_scale_f32 v15, vcc, 1.0, v7, 1.0
	v_fma_f32 v22, -v20, v21, 1.0
	v_fmac_f32_e32 v21, v22, v21
	v_mul_f32_e32 v22, v15, v21
	v_fma_f32 v23, -v20, v22, v15
	v_fmac_f32_e32 v22, v23, v21
	v_fma_f32 v15, -v20, v22, v15
	v_div_fmas_f32 v15, v15, v21, v22
	s_waitcnt lgkmcnt(0)
	v_pk_mul_f32 v[22:23], v[18:19], v[8:9] op_sel:[1,1] op_sel_hi:[1,0] neg_lo:[0,1]
	v_div_fixup_f32 v20, v15, v7, 1.0
	v_pk_fma_f32 v[8:9], v[8:9], v[18:19], v[22:23] op_sel_hi:[1,0,1]
                                        ; implicit-def: $vgpr7
	s_nop 0
	v_pk_add_f32 v[0:1], v[0:1], v[8:9] neg_lo:[0,1] neg_hi:[0,1]
	v_xor_b32_e32 v8, 0x80000000, v17
	v_mov_b32_e32 v9, v16
	v_pk_mul_f32 v[8:9], v[12:13], v[8:9] op_sel:[1,0]
	s_nop 0
	v_pk_fma_f32 v[8:9], v[16:17], v[12:13], v[8:9] op_sel_hi:[1,0,1]
	s_nop 0
	v_pk_add_f32 v[0:1], v[0:1], v[8:9] neg_lo:[0,1] neg_hi:[0,1]
	s_nop 0
	v_xor_b32_e32 v9, 0x80000000, v0
	v_mov_b32_e32 v8, v1
	v_pk_mul_f32 v[8:9], v[10:11], v[8:9] op_sel:[1,0]
	s_nop 0
	v_pk_fma_f32 v[0:1], v[0:1], v[10:11], v[8:9] op_sel_hi:[1,0,1]
	s_nop 0
	v_pk_mul_f32 v[0:1], v[20:21], v[0:1] op_sel_hi:[0,1]
.LBB49_39:
	s_andn2_saveexec_b64 s[0:1], s[0:1]
	s_cbranch_execz .LBB49_41
; %bb.40:
	ds_read2st64_b64 v[8:11], v6 offset0:4 offset1:8
	ds_read_b64 v[0:1], v6 offset:6152
	ds_read_b64 v[12:13], v7
	s_waitcnt lgkmcnt(2)
	v_mul_f32_e32 v7, v9, v9
	v_fmac_f32_e32 v7, v8, v8
	v_div_scale_f32 v15, s[4:5], v7, v7, 1.0
	v_rcp_f32_e32 v17, v15
	v_div_scale_f32 v18, vcc, 1.0, v7, 1.0
	v_xor_b32_e32 v16, 0x80000000, v11
	v_fma_f32 v19, -v15, v17, 1.0
	v_fmac_f32_e32 v17, v19, v17
	v_mul_f32_e32 v19, v18, v17
	v_fma_f32 v20, -v15, v19, v18
	v_fmac_f32_e32 v19, v20, v17
	v_fma_f32 v15, -v15, v19, v18
	v_div_fmas_f32 v15, v15, v17, v19
	v_mov_b32_e32 v17, v10
	s_waitcnt lgkmcnt(1)
	v_pk_mul_f32 v[16:17], v[0:1], v[16:17] op_sel:[1,0]
	v_div_fixup_f32 v18, v15, v7, 1.0
	v_pk_fma_f32 v[0:1], v[10:11], v[0:1], v[16:17] op_sel_hi:[1,0,1]
	s_waitcnt lgkmcnt(0)
	v_pk_add_f32 v[0:1], v[12:13], v[0:1] neg_lo:[0,1] neg_hi:[0,1]
	s_nop 0
	v_xor_b32_e32 v11, 0x80000000, v0
	v_mov_b32_e32 v10, v1
	v_pk_mul_f32 v[10:11], v[8:9], v[10:11] op_sel:[1,0]
	s_nop 0
	v_pk_fma_f32 v[0:1], v[0:1], v[8:9], v[10:11] op_sel_hi:[1,0,1]
	s_nop 0
	v_pk_mul_f32 v[0:1], v[18:19], v[0:1] op_sel_hi:[0,1]
.LBB49_41:
	s_or_b64 exec, exec, s[0:1]
	ds_write_b64 v6, v[0:1] offset:6144
.LBB49_42:
	s_or_b64 exec, exec, s[2:3]
	s_waitcnt lgkmcnt(0)
	s_barrier
	ds_read2st64_b64 v[6:9], v14 offset0:12 offset1:14
	s_waitcnt lgkmcnt(0)
	global_store_dwordx2 v[2:3], v[6:7], off
	global_store_dwordx2 v[4:5], v[8:9], off
	s_endpgm
	.section	.rodata,"a",@progbits
	.p2align	6, 0x0
	.amdhsa_kernel _ZN9rocsparseL51gtsv_nopivot_strided_batch_crpcr_pow2_shared_kernelILj128ELj64E21rocsparse_complex_numIfEEEviiiPKT1_S5_S5_PS3_
		.amdhsa_group_segment_fixed_size 12800
		.amdhsa_private_segment_fixed_size 0
		.amdhsa_kernarg_size 48
		.amdhsa_user_sgpr_count 2
		.amdhsa_user_sgpr_dispatch_ptr 0
		.amdhsa_user_sgpr_queue_ptr 0
		.amdhsa_user_sgpr_kernarg_segment_ptr 1
		.amdhsa_user_sgpr_dispatch_id 0
		.amdhsa_user_sgpr_kernarg_preload_length 0
		.amdhsa_user_sgpr_kernarg_preload_offset 0
		.amdhsa_user_sgpr_private_segment_size 0
		.amdhsa_uses_dynamic_stack 0
		.amdhsa_enable_private_segment 0
		.amdhsa_system_sgpr_workgroup_id_x 1
		.amdhsa_system_sgpr_workgroup_id_y 0
		.amdhsa_system_sgpr_workgroup_id_z 0
		.amdhsa_system_sgpr_workgroup_info 0
		.amdhsa_system_vgpr_workitem_id 0
		.amdhsa_next_free_vgpr 73
		.amdhsa_next_free_sgpr 91
		.amdhsa_accum_offset 36
		.amdhsa_reserve_vcc 1
		.amdhsa_float_round_mode_32 0
		.amdhsa_float_round_mode_16_64 0
		.amdhsa_float_denorm_mode_32 3
		.amdhsa_float_denorm_mode_16_64 3
		.amdhsa_dx10_clamp 1
		.amdhsa_ieee_mode 1
		.amdhsa_fp16_overflow 0
		.amdhsa_tg_split 0
		.amdhsa_exception_fp_ieee_invalid_op 0
		.amdhsa_exception_fp_denorm_src 0
		.amdhsa_exception_fp_ieee_div_zero 0
		.amdhsa_exception_fp_ieee_overflow 0
		.amdhsa_exception_fp_ieee_underflow 0
		.amdhsa_exception_fp_ieee_inexact 0
		.amdhsa_exception_int_div_zero 0
	.end_amdhsa_kernel
	.section	.text._ZN9rocsparseL51gtsv_nopivot_strided_batch_crpcr_pow2_shared_kernelILj128ELj64E21rocsparse_complex_numIfEEEviiiPKT1_S5_S5_PS3_,"axG",@progbits,_ZN9rocsparseL51gtsv_nopivot_strided_batch_crpcr_pow2_shared_kernelILj128ELj64E21rocsparse_complex_numIfEEEviiiPKT1_S5_S5_PS3_,comdat
.Lfunc_end49:
	.size	_ZN9rocsparseL51gtsv_nopivot_strided_batch_crpcr_pow2_shared_kernelILj128ELj64E21rocsparse_complex_numIfEEEviiiPKT1_S5_S5_PS3_, .Lfunc_end49-_ZN9rocsparseL51gtsv_nopivot_strided_batch_crpcr_pow2_shared_kernelILj128ELj64E21rocsparse_complex_numIfEEEviiiPKT1_S5_S5_PS3_
                                        ; -- End function
	.set _ZN9rocsparseL51gtsv_nopivot_strided_batch_crpcr_pow2_shared_kernelILj128ELj64E21rocsparse_complex_numIfEEEviiiPKT1_S5_S5_PS3_.num_vgpr, 36
	.set _ZN9rocsparseL51gtsv_nopivot_strided_batch_crpcr_pow2_shared_kernelILj128ELj64E21rocsparse_complex_numIfEEEviiiPKT1_S5_S5_PS3_.num_agpr, 0
	.set _ZN9rocsparseL51gtsv_nopivot_strided_batch_crpcr_pow2_shared_kernelILj128ELj64E21rocsparse_complex_numIfEEEviiiPKT1_S5_S5_PS3_.numbered_sgpr, 12
	.set _ZN9rocsparseL51gtsv_nopivot_strided_batch_crpcr_pow2_shared_kernelILj128ELj64E21rocsparse_complex_numIfEEEviiiPKT1_S5_S5_PS3_.num_named_barrier, 0
	.set _ZN9rocsparseL51gtsv_nopivot_strided_batch_crpcr_pow2_shared_kernelILj128ELj64E21rocsparse_complex_numIfEEEviiiPKT1_S5_S5_PS3_.private_seg_size, 0
	.set _ZN9rocsparseL51gtsv_nopivot_strided_batch_crpcr_pow2_shared_kernelILj128ELj64E21rocsparse_complex_numIfEEEviiiPKT1_S5_S5_PS3_.uses_vcc, 1
	.set _ZN9rocsparseL51gtsv_nopivot_strided_batch_crpcr_pow2_shared_kernelILj128ELj64E21rocsparse_complex_numIfEEEviiiPKT1_S5_S5_PS3_.uses_flat_scratch, 0
	.set _ZN9rocsparseL51gtsv_nopivot_strided_batch_crpcr_pow2_shared_kernelILj128ELj64E21rocsparse_complex_numIfEEEviiiPKT1_S5_S5_PS3_.has_dyn_sized_stack, 0
	.set _ZN9rocsparseL51gtsv_nopivot_strided_batch_crpcr_pow2_shared_kernelILj128ELj64E21rocsparse_complex_numIfEEEviiiPKT1_S5_S5_PS3_.has_recursion, 0
	.set _ZN9rocsparseL51gtsv_nopivot_strided_batch_crpcr_pow2_shared_kernelILj128ELj64E21rocsparse_complex_numIfEEEviiiPKT1_S5_S5_PS3_.has_indirect_call, 0
	.section	.AMDGPU.csdata,"",@progbits
; Kernel info:
; codeLenInByte = 6156
; TotalNumSgprs: 18
; NumVgprs: 36
; NumAgprs: 0
; TotalNumVgprs: 36
; ScratchSize: 0
; MemoryBound: 0
; FloatMode: 240
; IeeeMode: 1
; LDSByteSize: 12800 bytes/workgroup (compile time only)
; SGPRBlocks: 12
; VGPRBlocks: 9
; NumSGPRsForWavesPerEU: 97
; NumVGPRsForWavesPerEU: 73
; AccumOffset: 36
; Occupancy: 6
; WaveLimiterHint : 0
; COMPUTE_PGM_RSRC2:SCRATCH_EN: 0
; COMPUTE_PGM_RSRC2:USER_SGPR: 2
; COMPUTE_PGM_RSRC2:TRAP_HANDLER: 0
; COMPUTE_PGM_RSRC2:TGID_X_EN: 1
; COMPUTE_PGM_RSRC2:TGID_Y_EN: 0
; COMPUTE_PGM_RSRC2:TGID_Z_EN: 0
; COMPUTE_PGM_RSRC2:TIDIG_COMP_CNT: 0
; COMPUTE_PGM_RSRC3_GFX90A:ACCUM_OFFSET: 8
; COMPUTE_PGM_RSRC3_GFX90A:TG_SPLIT: 0
	.section	.text._ZN9rocsparseL51gtsv_nopivot_strided_batch_crpcr_pow2_shared_kernelILj256ELj64E21rocsparse_complex_numIfEEEviiiPKT1_S5_S5_PS3_,"axG",@progbits,_ZN9rocsparseL51gtsv_nopivot_strided_batch_crpcr_pow2_shared_kernelILj256ELj64E21rocsparse_complex_numIfEEEviiiPKT1_S5_S5_PS3_,comdat
	.globl	_ZN9rocsparseL51gtsv_nopivot_strided_batch_crpcr_pow2_shared_kernelILj256ELj64E21rocsparse_complex_numIfEEEviiiPKT1_S5_S5_PS3_ ; -- Begin function _ZN9rocsparseL51gtsv_nopivot_strided_batch_crpcr_pow2_shared_kernelILj256ELj64E21rocsparse_complex_numIfEEEviiiPKT1_S5_S5_PS3_
	.p2align	8
	.type	_ZN9rocsparseL51gtsv_nopivot_strided_batch_crpcr_pow2_shared_kernelILj256ELj64E21rocsparse_complex_numIfEEEviiiPKT1_S5_S5_PS3_,@function
_ZN9rocsparseL51gtsv_nopivot_strided_batch_crpcr_pow2_shared_kernelILj256ELj64E21rocsparse_complex_numIfEEEviiiPKT1_S5_S5_PS3_: ; @_ZN9rocsparseL51gtsv_nopivot_strided_batch_crpcr_pow2_shared_kernelILj256ELj64E21rocsparse_complex_numIfEEEviiiPKT1_S5_S5_PS3_
; %bb.0:
	s_load_dword s3, s[0:1], 0x8
	s_load_dwordx8 s[4:11], s[0:1], 0x10
	v_mov_b32_e32 v5, 0
	s_movk_i32 s0, 0x100
	v_lshlrev_b32_e32 v14, 3, v0
	s_waitcnt lgkmcnt(0)
	s_mul_i32 s3, s3, s2
	v_add_u32_e32 v2, s3, v0
	v_ashrrev_i32_e32 v3, 31, v2
	v_add_u32_e32 v4, 0x100, v2
	v_lshlrev_b64 v[2:3], 3, v[2:3]
	v_lshlrev_b64 v[4:5], 3, v[4:5]
	v_lshl_add_u64 v[6:7], s[4:5], 0, v[2:3]
	v_lshl_add_u64 v[8:9], s[4:5], 0, v[4:5]
	global_load_dwordx2 v[10:11], v[6:7], off
	global_load_dwordx2 v[12:13], v[8:9], off
	v_lshl_add_u64 v[6:7], s[6:7], 0, v[2:3]
	v_lshl_add_u64 v[8:9], s[6:7], 0, v[4:5]
	global_load_dwordx2 v[16:17], v[6:7], off
	global_load_dwordx2 v[20:21], v[8:9], off
	v_lshl_add_u64 v[6:7], s[8:9], 0, v[2:3]
	v_lshl_add_u64 v[8:9], s[8:9], 0, v[4:5]
	;; [unrolled: 1-line block ×3, first 2 shown]
	global_load_dwordx2 v[22:23], v[6:7], off
	global_load_dwordx2 v[24:25], v[8:9], off
	v_lshl_add_u64 v[4:5], s[10:11], 0, v[4:5]
	global_load_dwordx2 v[6:7], v[2:3], off
	global_load_dwordx2 v[8:9], v[4:5], off
	v_add_u32_e32 v19, 1, v0
	v_cmp_gt_u32_e64 s[0:1], s0, v0
	s_waitcnt vmcnt(6)
	ds_write2st64_b64 v14, v[10:11], v[12:13] offset1:4
	s_waitcnt vmcnt(4)
	ds_write2st64_b64 v14, v[16:17], v[20:21] offset0:8 offset1:12
	s_waitcnt vmcnt(2)
	ds_write2st64_b64 v14, v[22:23], v[24:25] offset0:16 offset1:20
	;; [unrolled: 2-line block ×3, first 2 shown]
	s_waitcnt lgkmcnt(0)
	s_barrier
	s_and_saveexec_b64 s[2:3], s[0:1]
	s_cbranch_execz .LBB50_2
; %bb.1:
	v_lshlrev_b32_e32 v1, 4, v19
	ds_read_b128 v[6:9], v1 offset:4080
	v_lshlrev_b32_e32 v10, 1, v19
	v_min_u32_e32 v15, 0x1ff, v10
	ds_read_b128 v[10:13], v1 offset:16368
	v_add_u32_e32 v31, -8, v1
	s_waitcnt lgkmcnt(1)
	v_mul_f32_e32 v18, v7, v7
	v_fmac_f32_e32 v18, v6, v6
	v_div_scale_f32 v20, s[4:5], v18, v18, 1.0
	v_rcp_f32_e32 v21, v20
	v_add_u32_e32 v22, -16, v1
	ds_read_b64 v[16:17], v31
	ds_read_b64 v[28:29], v22
	v_fma_f32 v23, -v20, v21, 1.0
	v_fmac_f32_e32 v21, v23, v21
	v_div_scale_f32 v23, vcc, 1.0, v18, 1.0
	v_mul_f32_e32 v24, v23, v21
	v_fma_f32 v25, -v20, v24, v23
	v_fmac_f32_e32 v24, v25, v21
	v_fma_f32 v20, -v20, v24, v23
	v_div_fmas_f32 v20, v20, v21, v24
	v_lshlrev_b32_e32 v15, 3, v15
	v_div_fixup_f32 v24, v20, v18, 1.0
	ds_read2st64_b64 v[20:23], v15 offset1:8
	s_waitcnt lgkmcnt(2)
	v_mul_f32_e32 v18, v7, v17
	v_mul_f32_e64 v7, v7, -v16
	v_fmac_f32_e32 v18, v16, v6
	v_fmac_f32_e32 v7, v17, v6
	s_waitcnt lgkmcnt(0)
	v_mul_f32_e32 v6, v23, v23
	v_fmac_f32_e32 v6, v22, v22
	v_div_scale_f32 v17, s[4:5], v6, v6, 1.0
	v_rcp_f32_e32 v30, v17
	v_mul_f32_e32 v16, v7, v24
	v_add_u32_e32 v7, 0x1800, v1
	v_mul_f32_e32 v18, v24, v18
	ds_read2_b64 v[24:27], v7 offset0:254 offset1:255
	v_fma_f32 v7, -v17, v30, 1.0
	v_fmac_f32_e32 v30, v7, v30
	v_div_scale_f32 v7, vcc, 1.0, v6, 1.0
	v_mul_f32_e32 v32, v7, v30
	v_fma_f32 v33, -v17, v32, v7
	v_fmac_f32_e32 v32, v33, v30
	v_fma_f32 v7, -v17, v32, v7
	v_div_fmas_f32 v7, v7, v30, v32
	v_div_fixup_f32 v6, v7, v6, 1.0
	s_waitcnt lgkmcnt(0)
	v_mul_f32_e32 v7, v23, v27
	v_fmac_f32_e32 v7, v26, v22
	v_mul_f32_e32 v30, v6, v7
	v_mul_f32_e64 v7, v23, -v26
	v_fmac_f32_e32 v7, v27, v22
	v_mul_f32_e32 v22, v7, v6
	v_xor_b32_e32 v6, 0x80000000, v25
	v_mov_b32_e32 v7, v24
	v_pk_mul_f32 v[6:7], v[16:17], v[6:7] op_sel_hi:[0,1]
	v_pk_fma_f32 v[6:7], v[24:25], v[18:19], v[6:7] op_sel_hi:[1,0,1]
	s_nop 0
	v_pk_add_f32 v[24:25], v[8:9], v[6:7] neg_lo:[0,1] neg_hi:[0,1]
	v_xor_b32_e32 v6, 0x80000000, v21
	v_mov_b32_e32 v7, v20
	v_pk_mul_f32 v[6:7], v[22:23], v[6:7] op_sel_hi:[0,1]
	v_pk_fma_f32 v[20:21], v[20:21], v[30:31], v[6:7] op_sel_hi:[1,0,1]
	ds_read2st64_b64 v[6:9], v15 offset0:16 offset1:32
	v_pk_add_f32 v[20:21], v[24:25], v[20:21] neg_lo:[0,1] neg_hi:[0,1]
	v_pk_mul_f32 v[24:25], v[16:17], v[10:11] op_sel:[0,1] op_sel_hi:[0,0] neg_lo:[0,1]
	v_pk_fma_f32 v[10:11], v[10:11], v[18:19], v[24:25] op_sel_hi:[1,0,1]
	s_nop 0
	v_pk_add_f32 v[10:11], v[12:13], v[10:11] neg_lo:[0,1] neg_hi:[0,1]
	s_waitcnt lgkmcnt(0)
	v_xor_b32_e32 v12, 0x80000000, v9
	v_mov_b32_e32 v13, v8
	v_pk_mul_f32 v[12:13], v[22:23], v[12:13] op_sel_hi:[0,1]
	v_pk_fma_f32 v[8:9], v[8:9], v[30:31], v[12:13] op_sel_hi:[1,0,1]
	s_nop 0
	v_pk_add_f32 v[8:9], v[10:11], v[8:9] neg_lo:[0,1] neg_hi:[0,1]
	ds_write_b64 v1, v[8:9] offset:16376
	v_pk_add_f32 v[8:9], v[28:29], 0 neg_lo:[1,1] neg_hi:[1,1]
	v_add_u32_e32 v1, 0x1f8, v1
	v_pk_mov_b32 v[8:9], v[28:29], v[8:9] op_sel:[1,0]
	s_nop 0
	v_pk_mul_f32 v[8:9], v[16:17], v[8:9] op_sel_hi:[0,1]
	v_pk_fma_f32 v[8:9], v[28:29], v[18:19], v[8:9] op_sel_hi:[1,0,1] neg_lo:[1,0,0] neg_hi:[1,0,0]
	ds_write_b64 v31, v[8:9]
	v_pk_add_f32 v[8:9], v[6:7], 0 neg_lo:[1,1] neg_hi:[1,1]
	s_nop 0
	v_pk_mov_b32 v[8:9], v[6:7], v[8:9] op_sel:[1,0]
	s_nop 0
	v_pk_mul_f32 v[8:9], v[22:23], v[8:9] op_sel_hi:[0,1]
	v_pk_fma_f32 v[6:7], v[6:7], v[30:31], v[8:9] op_sel_hi:[1,0,1] neg_lo:[1,0,0] neg_hi:[1,0,0]
	ds_write2st64_b64 v1, v[20:21], v[6:7] offset0:7 offset1:15
.LBB50_2:
	s_or_b64 exec, exec, s[2:3]
	s_movk_i32 s2, 0x80
	v_cmp_gt_u32_e64 s[2:3], s2, v0
	s_waitcnt lgkmcnt(0)
	s_barrier
	s_and_saveexec_b64 s[4:5], s[2:3]
	s_cbranch_execz .LBB50_4
; %bb.3:
	v_lshlrev_b32_e32 v1, 5, v19
	v_add_u32_e32 v6, 0x800, v1
	ds_read2_b64 v[6:9], v6 offset0:253 offset1:255
	v_lshl_or_b32 v10, v19, 2, 1
	v_min_u32_e32 v10, 0x1ff, v10
	v_add_u32_e32 v15, -8, v1
	ds_read_b64 v[16:17], v15
	s_waitcnt lgkmcnt(1)
	v_mul_f32_e32 v11, v7, v7
	v_fmac_f32_e32 v11, v6, v6
	v_div_scale_f32 v12, s[6:7], v11, v11, 1.0
	v_rcp_f32_e32 v13, v12
	v_lshlrev_b32_e32 v27, 3, v10
	v_subrev_u32_e32 v18, 24, v1
	ds_read_b64 v[24:25], v18
	v_fma_f32 v20, -v12, v13, 1.0
	v_fmac_f32_e32 v13, v20, v13
	v_div_scale_f32 v20, vcc, 1.0, v11, 1.0
	v_mul_f32_e32 v21, v20, v13
	v_fma_f32 v22, -v12, v21, v20
	v_fmac_f32_e32 v21, v22, v13
	v_fma_f32 v12, -v12, v21, v20
	v_div_fmas_f32 v12, v12, v13, v21
	v_div_fixup_f32 v20, v12, v11, 1.0
	ds_read2st64_b64 v[10:13], v27 offset1:8
	s_waitcnt lgkmcnt(2)
	v_mul_f32_e32 v18, v7, v17
	v_mul_f32_e64 v7, v7, -v16
	v_fmac_f32_e32 v18, v16, v6
	v_fmac_f32_e32 v7, v17, v6
	s_waitcnt lgkmcnt(0)
	v_mul_f32_e32 v6, v13, v13
	v_fmac_f32_e32 v6, v12, v12
	v_div_scale_f32 v17, s[6:7], v6, v6, 1.0
	v_rcp_f32_e32 v26, v17
	v_mul_f32_e32 v16, v7, v20
	v_add_u32_e32 v7, 0x1800, v1
	v_mul_f32_e32 v18, v20, v18
	ds_read2_b64 v[20:23], v7 offset0:253 offset1:255
	v_fma_f32 v7, -v17, v26, 1.0
	v_fmac_f32_e32 v26, v7, v26
	v_div_scale_f32 v7, vcc, 1.0, v6, 1.0
	v_mul_f32_e32 v28, v7, v26
	v_fma_f32 v29, -v17, v28, v7
	v_fmac_f32_e32 v28, v29, v26
	v_fma_f32 v7, -v17, v28, v7
	v_div_fmas_f32 v7, v7, v26, v28
	v_div_fixup_f32 v6, v7, v6, 1.0
	s_waitcnt lgkmcnt(0)
	v_mul_f32_e32 v7, v13, v23
	v_fmac_f32_e32 v7, v22, v12
	v_mul_f32_e32 v26, v6, v7
	v_mul_f32_e64 v7, v13, -v22
	v_fmac_f32_e32 v7, v23, v12
	v_mul_f32_e32 v22, v7, v6
	v_xor_b32_e32 v6, 0x80000000, v21
	v_mov_b32_e32 v7, v20
	v_pk_mul_f32 v[6:7], v[16:17], v[6:7] op_sel_hi:[0,1]
	v_pk_fma_f32 v[6:7], v[20:21], v[18:19], v[6:7] op_sel_hi:[1,0,1]
	v_xor_b32_e32 v20, 0x80000000, v11
	v_pk_add_f32 v[12:13], v[8:9], v[6:7] neg_lo:[0,1] neg_hi:[0,1]
	v_add_u32_e32 v6, 0x3800, v1
	v_mov_b32_e32 v21, v10
	ds_read2_b64 v[6:9], v6 offset0:253 offset1:255
	v_pk_mul_f32 v[20:21], v[22:23], v[20:21] op_sel_hi:[0,1]
	v_pk_fma_f32 v[10:11], v[10:11], v[26:27], v[20:21] op_sel_hi:[1,0,1]
	s_waitcnt lgkmcnt(0)
	v_xor_b32_e32 v28, 0x80000000, v7
	v_pk_add_f32 v[20:21], v[12:13], v[10:11] neg_lo:[0,1] neg_hi:[0,1]
	ds_read2st64_b64 v[10:13], v27 offset0:16 offset1:32
	v_mov_b32_e32 v29, v6
	v_pk_mul_f32 v[28:29], v[16:17], v[28:29] op_sel_hi:[0,1]
	v_pk_fma_f32 v[6:7], v[6:7], v[18:19], v[28:29] op_sel_hi:[1,0,1]
	s_nop 0
	v_pk_add_f32 v[6:7], v[8:9], v[6:7] neg_lo:[0,1] neg_hi:[0,1]
	s_waitcnt lgkmcnt(0)
	v_xor_b32_e32 v8, 0x80000000, v13
	v_mov_b32_e32 v9, v12
	v_pk_mul_f32 v[8:9], v[22:23], v[8:9] op_sel_hi:[0,1]
	v_pk_fma_f32 v[8:9], v[12:13], v[26:27], v[8:9] op_sel_hi:[1,0,1]
	s_nop 0
	v_pk_add_f32 v[6:7], v[6:7], v[8:9] neg_lo:[0,1] neg_hi:[0,1]
	ds_write_b64 v1, v[6:7] offset:16376
	v_pk_add_f32 v[6:7], v[24:25], 0 neg_lo:[1,1] neg_hi:[1,1]
	v_add_u32_e32 v1, 0x1f8, v1
	v_pk_mov_b32 v[6:7], v[24:25], v[6:7] op_sel:[1,0]
	s_nop 0
	v_pk_mul_f32 v[6:7], v[16:17], v[6:7] op_sel_hi:[0,1]
	v_pk_fma_f32 v[6:7], v[24:25], v[18:19], v[6:7] op_sel_hi:[1,0,1] neg_lo:[1,0,0] neg_hi:[1,0,0]
	ds_write_b64 v15, v[6:7]
	v_pk_add_f32 v[6:7], v[10:11], 0 neg_lo:[1,1] neg_hi:[1,1]
	s_nop 0
	v_pk_mov_b32 v[6:7], v[10:11], v[6:7] op_sel:[1,0]
	s_nop 0
	v_pk_mul_f32 v[6:7], v[22:23], v[6:7] op_sel_hi:[0,1]
	v_pk_fma_f32 v[6:7], v[10:11], v[26:27], v[6:7] op_sel_hi:[1,0,1] neg_lo:[1,0,0] neg_hi:[1,0,0]
	ds_write2st64_b64 v1, v[20:21], v[6:7] offset0:7 offset1:15
.LBB50_4:
	s_or_b64 exec, exec, s[4:5]
	v_cmp_gt_u32_e64 s[4:5], 64, v0
	v_lshlrev_b32_e32 v1, 6, v19
	s_waitcnt lgkmcnt(0)
	s_barrier
	s_and_saveexec_b64 s[6:7], s[4:5]
	s_cbranch_execz .LBB50_6
; %bb.5:
	v_add_u32_e32 v6, 0x800, v1
	ds_read2_b64 v[6:9], v6 offset0:251 offset1:255
	v_lshl_or_b32 v10, v19, 3, 3
	v_add_u32_e32 v15, -8, v1
	v_min_u32_e32 v10, 0x1ff, v10
	ds_read_b64 v[16:17], v15
	s_waitcnt lgkmcnt(1)
	v_mul_f32_e32 v11, v7, v7
	v_fmac_f32_e32 v11, v6, v6
	v_div_scale_f32 v12, s[8:9], v11, v11, 1.0
	v_rcp_f32_e32 v13, v12
	v_lshlrev_b32_e32 v27, 3, v10
	v_subrev_u32_e32 v18, 40, v1
	ds_read_b64 v[24:25], v18
	v_fma_f32 v20, -v12, v13, 1.0
	v_fmac_f32_e32 v13, v20, v13
	v_div_scale_f32 v20, vcc, 1.0, v11, 1.0
	v_mul_f32_e32 v21, v20, v13
	v_fma_f32 v22, -v12, v21, v20
	v_fmac_f32_e32 v21, v22, v13
	v_fma_f32 v12, -v12, v21, v20
	v_div_fmas_f32 v12, v12, v13, v21
	v_div_fixup_f32 v20, v12, v11, 1.0
	ds_read2st64_b64 v[10:13], v27 offset1:8
	s_waitcnt lgkmcnt(2)
	v_mul_f32_e32 v18, v7, v17
	v_mul_f32_e64 v7, v7, -v16
	v_fmac_f32_e32 v18, v16, v6
	v_fmac_f32_e32 v7, v17, v6
	s_waitcnt lgkmcnt(0)
	v_mul_f32_e32 v6, v13, v13
	v_fmac_f32_e32 v6, v12, v12
	v_div_scale_f32 v17, s[8:9], v6, v6, 1.0
	v_rcp_f32_e32 v26, v17
	v_mul_f32_e32 v16, v7, v20
	v_add_u32_e32 v7, 0x1800, v1
	v_mul_f32_e32 v18, v20, v18
	ds_read2_b64 v[20:23], v7 offset0:251 offset1:255
	v_fma_f32 v7, -v17, v26, 1.0
	v_fmac_f32_e32 v26, v7, v26
	v_div_scale_f32 v7, vcc, 1.0, v6, 1.0
	v_mul_f32_e32 v28, v7, v26
	v_fma_f32 v29, -v17, v28, v7
	v_fmac_f32_e32 v28, v29, v26
	v_fma_f32 v7, -v17, v28, v7
	v_div_fmas_f32 v7, v7, v26, v28
	v_div_fixup_f32 v6, v7, v6, 1.0
	s_waitcnt lgkmcnt(0)
	v_mul_f32_e32 v7, v13, v23
	v_fmac_f32_e32 v7, v22, v12
	v_mul_f32_e32 v26, v6, v7
	v_mul_f32_e64 v7, v13, -v22
	v_fmac_f32_e32 v7, v23, v12
	v_mul_f32_e32 v22, v7, v6
	v_xor_b32_e32 v6, 0x80000000, v21
	v_mov_b32_e32 v7, v20
	v_pk_mul_f32 v[6:7], v[16:17], v[6:7] op_sel_hi:[0,1]
	v_pk_fma_f32 v[6:7], v[20:21], v[18:19], v[6:7] op_sel_hi:[1,0,1]
	v_xor_b32_e32 v20, 0x80000000, v11
	v_pk_add_f32 v[12:13], v[8:9], v[6:7] neg_lo:[0,1] neg_hi:[0,1]
	v_add_u32_e32 v6, 0x3800, v1
	v_mov_b32_e32 v21, v10
	ds_read2_b64 v[6:9], v6 offset0:251 offset1:255
	v_pk_mul_f32 v[20:21], v[22:23], v[20:21] op_sel_hi:[0,1]
	v_pk_fma_f32 v[10:11], v[10:11], v[26:27], v[20:21] op_sel_hi:[1,0,1]
	s_waitcnt lgkmcnt(0)
	v_xor_b32_e32 v28, 0x80000000, v7
	v_pk_add_f32 v[20:21], v[12:13], v[10:11] neg_lo:[0,1] neg_hi:[0,1]
	ds_read2st64_b64 v[10:13], v27 offset0:16 offset1:32
	v_mov_b32_e32 v29, v6
	v_pk_mul_f32 v[28:29], v[16:17], v[28:29] op_sel_hi:[0,1]
	v_pk_fma_f32 v[6:7], v[6:7], v[18:19], v[28:29] op_sel_hi:[1,0,1]
	s_nop 0
	v_pk_add_f32 v[6:7], v[8:9], v[6:7] neg_lo:[0,1] neg_hi:[0,1]
	s_waitcnt lgkmcnt(0)
	v_xor_b32_e32 v8, 0x80000000, v13
	v_mov_b32_e32 v9, v12
	v_pk_mul_f32 v[8:9], v[22:23], v[8:9] op_sel_hi:[0,1]
	v_pk_fma_f32 v[8:9], v[12:13], v[26:27], v[8:9] op_sel_hi:[1,0,1]
	s_nop 0
	v_pk_add_f32 v[6:7], v[6:7], v[8:9] neg_lo:[0,1] neg_hi:[0,1]
	ds_write_b64 v1, v[6:7] offset:16376
	v_pk_add_f32 v[6:7], v[24:25], 0 neg_lo:[1,1] neg_hi:[1,1]
	v_add_u32_e32 v8, 0x1f8, v1
	v_pk_mov_b32 v[6:7], v[24:25], v[6:7] op_sel:[1,0]
	s_nop 0
	v_pk_mul_f32 v[6:7], v[16:17], v[6:7] op_sel_hi:[0,1]
	v_pk_fma_f32 v[6:7], v[24:25], v[18:19], v[6:7] op_sel_hi:[1,0,1] neg_lo:[1,0,0] neg_hi:[1,0,0]
	ds_write_b64 v15, v[6:7]
	v_pk_add_f32 v[6:7], v[10:11], 0 neg_lo:[1,1] neg_hi:[1,1]
	s_nop 0
	v_pk_mov_b32 v[6:7], v[10:11], v[6:7] op_sel:[1,0]
	s_nop 0
	v_pk_mul_f32 v[6:7], v[22:23], v[6:7] op_sel_hi:[0,1]
	v_pk_fma_f32 v[6:7], v[10:11], v[26:27], v[6:7] op_sel_hi:[1,0,1] neg_lo:[1,0,0] neg_hi:[1,0,0]
	ds_write2st64_b64 v8, v[20:21], v[6:7] offset0:7 offset1:15
.LBB50_6:
	s_or_b64 exec, exec, s[6:7]
	s_waitcnt lgkmcnt(0)
	s_barrier
	s_and_saveexec_b64 s[6:7], s[4:5]
	s_cbranch_execz .LBB50_8
; %bb.7:
	v_add_u32_e32 v10, -8, v1
	v_add_u32_e32 v6, 0x1f8, v1
	ds_read2st64_b64 v[6:9], v6 offset0:7 offset1:15
	ds_read_b64 v[10:11], v10
	ds_read_b64 v[12:13], v1 offset:16376
	s_waitcnt lgkmcnt(1)
	ds_write2st64_b64 v14, v[10:11], v[6:7] offset0:40 offset1:41
	s_waitcnt lgkmcnt(1)
	ds_write2st64_b64 v14, v[8:9], v[12:13] offset0:42 offset1:44
.LBB50_8:
	s_or_b64 exec, exec, s[6:7]
	v_or_b32_e32 v16, 0x5000, v14
	v_add_u32_e32 v17, 0x5400, v14
	v_add_u32_e32 v18, 0x5200, v14
	v_or_b32_e32 v15, 0x5800, v14
	s_waitcnt lgkmcnt(0)
	s_barrier
                                        ; implicit-def: $vgpr6_vgpr7
                                        ; implicit-def: $vgpr8_vgpr9
                                        ; implicit-def: $vgpr10_vgpr11
                                        ; implicit-def: $vgpr12_vgpr13
	s_and_saveexec_b64 s[6:7], s[4:5]
	s_cbranch_execz .LBB50_10
; %bb.9:
	v_sub_u32_e64 v6, v0, 1 clamp
	v_lshlrev_b32_e32 v22, 3, v6
	ds_read2st64_b64 v[10:13], v22 offset0:40 offset1:41
	v_min_u32_e32 v6, 63, v19
	v_lshlrev_b32_e32 v19, 3, v6
	ds_read_b64 v[20:21], v16
	s_waitcnt lgkmcnt(1)
	v_mul_f32_e32 v7, v13, v13
	v_fmac_f32_e32 v7, v12, v12
	v_div_scale_f32 v8, s[8:9], v7, v7, 1.0
	v_rcp_f32_e32 v9, v8
	v_div_scale_f32 v6, vcc, 1.0, v7, 1.0
	s_waitcnt lgkmcnt(0)
	v_mul_f32_e32 v30, v13, v21
	v_fma_f32 v23, -v8, v9, 1.0
	v_fmac_f32_e32 v9, v23, v9
	v_mul_f32_e32 v23, v6, v9
	v_fma_f32 v24, -v8, v23, v6
	v_fmac_f32_e32 v23, v24, v9
	v_fma_f32 v6, -v8, v23, v6
	v_div_fmas_f32 v6, v6, v9, v23
	v_div_fixup_f32 v23, v6, v7, 1.0
	ds_read2st64_b64 v[6:9], v19 offset0:40 offset1:41
	ds_read_b64 v[24:25], v17
	ds_read_b64 v[26:27], v18
	;; [unrolled: 1-line block ×3, first 2 shown]
	v_mul_f32_e64 v13, v13, -v20
	s_waitcnt lgkmcnt(3)
	v_mul_f32_e32 v31, v9, v9
	v_fmac_f32_e32 v31, v8, v8
	v_div_scale_f32 v32, s[8:9], v31, v31, 1.0
	v_rcp_f32_e32 v33, v32
	v_fmac_f32_e32 v13, v21, v12
	v_fmac_f32_e32 v30, v20, v12
	v_mul_f32_e32 v12, v13, v23
	v_fma_f32 v13, -v32, v33, 1.0
	v_fmac_f32_e32 v33, v13, v33
	v_div_scale_f32 v13, vcc, 1.0, v31, 1.0
	v_mul_f32_e32 v20, v13, v33
	v_fma_f32 v21, -v32, v20, v13
	v_fmac_f32_e32 v20, v21, v33
	v_fma_f32 v13, -v32, v20, v13
	v_mul_f32_e32 v30, v23, v30
	v_div_fmas_f32 v13, v13, v33, v20
	ds_read2st64_b64 v[20:23], v22 offset0:42 offset1:44
	v_div_fixup_f32 v13, v13, v31, 1.0
	s_waitcnt lgkmcnt(3)
	v_mul_f32_e32 v31, v9, v25
	v_mul_f32_e64 v9, v9, -v24
	v_fmac_f32_e32 v9, v25, v8
	v_fmac_f32_e32 v31, v24, v8
	v_mul_f32_e32 v34, v9, v13
	s_waitcnt lgkmcnt(0)
	v_pk_mul_f32 v[8:9], v[12:13], v[20:21] op_sel:[0,1] op_sel_hi:[0,0] neg_lo:[0,1]
	v_pk_fma_f32 v[8:9], v[20:21], v[30:31], v[8:9] op_sel_hi:[1,0,1]
	v_xor_b32_e32 v20, 0x80000000, v7
	v_pk_add_f32 v[8:9], v[26:27], v[8:9] neg_lo:[0,1] neg_hi:[0,1]
	ds_read2st64_b64 v[24:27], v19 offset0:42 offset1:44
	v_mov_b32_e32 v21, v6
	v_mul_f32_e32 v32, v13, v31
	v_pk_mul_f32 v[20:21], v[34:35], v[20:21] op_sel_hi:[0,1]
	v_pk_fma_f32 v[6:7], v[6:7], v[32:33], v[20:21] op_sel_hi:[1,0,1]
	s_waitcnt lgkmcnt(0)
	v_xor_b32_e32 v20, 0x80000000, v27
	v_pk_add_f32 v[6:7], v[8:9], v[6:7] neg_lo:[0,1] neg_hi:[0,1]
	v_pk_mul_f32 v[8:9], v[12:13], v[22:23] op_sel:[0,1] op_sel_hi:[0,0] neg_lo:[0,1]
	v_mov_b32_e32 v21, v26
	v_pk_fma_f32 v[8:9], v[22:23], v[30:31], v[8:9] op_sel_hi:[1,0,1]
	v_pk_mul_f32 v[20:21], v[34:35], v[20:21] op_sel_hi:[0,1]
	v_pk_add_f32 v[8:9], v[28:29], v[8:9] neg_lo:[0,1] neg_hi:[0,1]
	v_pk_fma_f32 v[20:21], v[26:27], v[32:33], v[20:21] op_sel_hi:[1,0,1]
	s_nop 0
	v_pk_add_f32 v[8:9], v[8:9], v[20:21] neg_lo:[0,1] neg_hi:[0,1]
	v_pk_add_f32 v[20:21], v[10:11], 0 neg_lo:[1,1] neg_hi:[1,1]
	s_nop 0
	v_pk_mov_b32 v[20:21], v[10:11], v[20:21] op_sel:[1,0]
	s_nop 0
	v_pk_mul_f32 v[12:13], v[12:13], v[20:21] op_sel_hi:[0,1]
	v_pk_fma_f32 v[10:11], v[10:11], v[30:31], v[12:13] op_sel_hi:[1,0,1] neg_lo:[1,0,0] neg_hi:[1,0,0]
	v_pk_add_f32 v[12:13], v[24:25], 0 neg_lo:[1,1] neg_hi:[1,1]
	s_nop 0
	v_pk_mov_b32 v[12:13], v[24:25], v[12:13] op_sel:[1,0]
	s_nop 0
	v_pk_mul_f32 v[12:13], v[34:35], v[12:13] op_sel_hi:[0,1]
	v_pk_fma_f32 v[12:13], v[24:25], v[32:33], v[12:13] op_sel_hi:[1,0,1] neg_lo:[1,0,0] neg_hi:[1,0,0]
.LBB50_10:
	s_or_b64 exec, exec, s[6:7]
	s_barrier
	s_and_saveexec_b64 s[6:7], s[4:5]
	s_cbranch_execz .LBB50_12
; %bb.11:
	ds_write_b64 v18, v[6:7]
	ds_write_b64 v15, v[8:9]
	;; [unrolled: 1-line block ×4, first 2 shown]
.LBB50_12:
	s_or_b64 exec, exec, s[6:7]
	s_waitcnt lgkmcnt(0)
	s_barrier
	s_and_saveexec_b64 s[6:7], s[4:5]
	s_cbranch_execz .LBB50_14
; %bb.13:
	v_sub_u32_e64 v6, v0, 2 clamp
	v_lshlrev_b32_e32 v19, 3, v6
	ds_read2st64_b64 v[10:13], v19 offset0:40 offset1:41
	ds_read_b64 v[20:21], v16
	v_min_u32_e32 v6, 61, v0
	v_lshlrev_b32_e32 v6, 3, v6
	v_add_u32_e32 v31, 16, v6
	s_waitcnt lgkmcnt(1)
	v_mul_f32_e32 v7, v13, v13
	v_fmac_f32_e32 v7, v12, v12
	v_div_scale_f32 v8, s[8:9], v7, v7, 1.0
	v_rcp_f32_e32 v9, v8
	v_div_scale_f32 v22, vcc, 1.0, v7, 1.0
	v_fma_f32 v23, -v8, v9, 1.0
	v_fmac_f32_e32 v9, v23, v9
	v_mul_f32_e32 v23, v22, v9
	v_fma_f32 v24, -v8, v23, v22
	v_fmac_f32_e32 v23, v24, v9
	v_fma_f32 v8, -v8, v23, v22
	v_div_fmas_f32 v8, v8, v9, v23
	v_div_fixup_f32 v22, v8, v7, 1.0
	ds_read2st64_b64 v[6:9], v31 offset0:40 offset1:41
	ds_read_b64 v[24:25], v17
	ds_read_b64 v[26:27], v18
	;; [unrolled: 1-line block ×3, first 2 shown]
	s_waitcnt lgkmcnt(4)
	v_mul_f32_e32 v23, v13, v21
	v_fmac_f32_e32 v23, v20, v12
	v_mul_f32_e32 v30, v22, v23
	s_waitcnt lgkmcnt(3)
	v_mul_f32_e32 v23, v9, v9
	v_fmac_f32_e32 v23, v8, v8
	v_div_scale_f32 v32, s[8:9], v23, v23, 1.0
	v_rcp_f32_e32 v33, v32
	v_mul_f32_e64 v13, v13, -v20
	v_fmac_f32_e32 v13, v21, v12
	v_mul_f32_e32 v12, v13, v22
	v_fma_f32 v13, -v32, v33, 1.0
	v_fmac_f32_e32 v33, v13, v33
	v_div_scale_f32 v13, vcc, 1.0, v23, 1.0
	v_mul_f32_e32 v20, v13, v33
	v_fma_f32 v21, -v32, v20, v13
	v_fmac_f32_e32 v20, v21, v33
	v_fma_f32 v13, -v32, v20, v13
	v_div_fmas_f32 v13, v13, v33, v20
	v_div_fixup_f32 v13, v13, v23, 1.0
	ds_read2st64_b64 v[20:23], v19 offset0:42 offset1:44
	s_waitcnt lgkmcnt(3)
	v_mul_f32_e32 v32, v9, v25
	v_mul_f32_e64 v9, v9, -v24
	v_fmac_f32_e32 v9, v25, v8
	v_fmac_f32_e32 v32, v24, v8
	v_mul_f32_e32 v34, v9, v13
	s_waitcnt lgkmcnt(0)
	v_pk_mul_f32 v[8:9], v[12:13], v[20:21] op_sel:[0,1] op_sel_hi:[0,0] neg_lo:[0,1]
	v_pk_fma_f32 v[8:9], v[20:21], v[30:31], v[8:9] op_sel_hi:[1,0,1]
	v_mul_f32_e32 v32, v13, v32
	v_pk_add_f32 v[8:9], v[26:27], v[8:9] neg_lo:[0,1] neg_hi:[0,1]
	ds_read2st64_b64 v[24:27], v31 offset0:42 offset1:44
	v_pk_mul_f32 v[20:21], v[34:35], v[6:7] op_sel:[0,1] op_sel_hi:[0,0] neg_lo:[0,1]
	v_pk_fma_f32 v[6:7], v[6:7], v[32:33], v[20:21] op_sel_hi:[1,0,1]
	s_waitcnt lgkmcnt(0)
	v_pk_mul_f32 v[20:21], v[34:35], v[26:27] op_sel:[0,1] op_sel_hi:[0,0] neg_lo:[0,1]
	v_pk_add_f32 v[6:7], v[8:9], v[6:7] neg_lo:[0,1] neg_hi:[0,1]
	v_pk_mul_f32 v[8:9], v[12:13], v[22:23] op_sel:[0,1] op_sel_hi:[0,0] neg_lo:[0,1]
	v_pk_fma_f32 v[8:9], v[22:23], v[30:31], v[8:9] op_sel_hi:[1,0,1]
	v_pk_fma_f32 v[20:21], v[26:27], v[32:33], v[20:21] op_sel_hi:[1,0,1]
	v_pk_add_f32 v[8:9], v[28:29], v[8:9] neg_lo:[0,1] neg_hi:[0,1]
	s_nop 0
	v_pk_add_f32 v[8:9], v[8:9], v[20:21] neg_lo:[0,1] neg_hi:[0,1]
	v_pk_add_f32 v[20:21], v[10:11], 0 neg_lo:[1,1] neg_hi:[1,1]
	s_nop 0
	v_pk_mov_b32 v[20:21], v[10:11], v[20:21] op_sel:[1,0]
	s_nop 0
	v_pk_mul_f32 v[12:13], v[12:13], v[20:21] op_sel_hi:[0,1]
	v_pk_fma_f32 v[10:11], v[10:11], v[30:31], v[12:13] op_sel_hi:[1,0,1] neg_lo:[1,0,0] neg_hi:[1,0,0]
	v_pk_add_f32 v[12:13], v[24:25], 0 neg_lo:[1,1] neg_hi:[1,1]
	s_nop 0
	v_pk_mov_b32 v[12:13], v[24:25], v[12:13] op_sel:[1,0]
	s_nop 0
	v_pk_mul_f32 v[12:13], v[34:35], v[12:13] op_sel_hi:[0,1]
	v_pk_fma_f32 v[12:13], v[24:25], v[32:33], v[12:13] op_sel_hi:[1,0,1] neg_lo:[1,0,0] neg_hi:[1,0,0]
.LBB50_14:
	s_or_b64 exec, exec, s[6:7]
	s_barrier
	s_and_saveexec_b64 s[6:7], s[4:5]
	s_cbranch_execz .LBB50_16
; %bb.15:
	ds_write_b64 v18, v[6:7]
	ds_write_b64 v15, v[8:9]
	;; [unrolled: 1-line block ×4, first 2 shown]
.LBB50_16:
	s_or_b64 exec, exec, s[6:7]
	s_waitcnt lgkmcnt(0)
	s_barrier
	s_and_saveexec_b64 s[6:7], s[4:5]
	s_cbranch_execz .LBB50_18
; %bb.17:
	v_sub_u32_e64 v6, v0, 4 clamp
	v_lshlrev_b32_e32 v19, 3, v6
	ds_read2st64_b64 v[10:13], v19 offset0:40 offset1:41
	ds_read_b64 v[20:21], v16
	v_min_u32_e32 v6, 59, v0
	v_lshlrev_b32_e32 v6, 3, v6
	v_add_u32_e32 v31, 32, v6
	s_waitcnt lgkmcnt(1)
	v_mul_f32_e32 v7, v13, v13
	v_fmac_f32_e32 v7, v12, v12
	v_div_scale_f32 v8, s[8:9], v7, v7, 1.0
	v_rcp_f32_e32 v9, v8
	v_div_scale_f32 v22, vcc, 1.0, v7, 1.0
	v_fma_f32 v23, -v8, v9, 1.0
	v_fmac_f32_e32 v9, v23, v9
	v_mul_f32_e32 v23, v22, v9
	v_fma_f32 v24, -v8, v23, v22
	v_fmac_f32_e32 v23, v24, v9
	v_fma_f32 v8, -v8, v23, v22
	v_div_fmas_f32 v8, v8, v9, v23
	v_div_fixup_f32 v22, v8, v7, 1.0
	ds_read2st64_b64 v[6:9], v31 offset0:40 offset1:41
	ds_read_b64 v[24:25], v17
	ds_read_b64 v[26:27], v18
	;; [unrolled: 1-line block ×3, first 2 shown]
	s_waitcnt lgkmcnt(4)
	v_mul_f32_e32 v23, v13, v21
	v_fmac_f32_e32 v23, v20, v12
	v_mul_f32_e32 v30, v22, v23
	s_waitcnt lgkmcnt(3)
	v_mul_f32_e32 v23, v9, v9
	v_fmac_f32_e32 v23, v8, v8
	v_div_scale_f32 v32, s[8:9], v23, v23, 1.0
	v_rcp_f32_e32 v33, v32
	v_mul_f32_e64 v13, v13, -v20
	v_fmac_f32_e32 v13, v21, v12
	v_mul_f32_e32 v12, v13, v22
	v_fma_f32 v13, -v32, v33, 1.0
	v_fmac_f32_e32 v33, v13, v33
	v_div_scale_f32 v13, vcc, 1.0, v23, 1.0
	v_mul_f32_e32 v20, v13, v33
	v_fma_f32 v21, -v32, v20, v13
	v_fmac_f32_e32 v20, v21, v33
	v_fma_f32 v13, -v32, v20, v13
	v_div_fmas_f32 v13, v13, v33, v20
	v_div_fixup_f32 v13, v13, v23, 1.0
	ds_read2st64_b64 v[20:23], v19 offset0:42 offset1:44
	s_waitcnt lgkmcnt(3)
	v_mul_f32_e32 v32, v9, v25
	v_mul_f32_e64 v9, v9, -v24
	v_fmac_f32_e32 v9, v25, v8
	v_fmac_f32_e32 v32, v24, v8
	v_mul_f32_e32 v34, v9, v13
	s_waitcnt lgkmcnt(0)
	v_pk_mul_f32 v[8:9], v[12:13], v[20:21] op_sel:[0,1] op_sel_hi:[0,0] neg_lo:[0,1]
	v_pk_fma_f32 v[8:9], v[20:21], v[30:31], v[8:9] op_sel_hi:[1,0,1]
	v_mul_f32_e32 v32, v13, v32
	v_pk_add_f32 v[8:9], v[26:27], v[8:9] neg_lo:[0,1] neg_hi:[0,1]
	ds_read2st64_b64 v[24:27], v31 offset0:42 offset1:44
	v_pk_mul_f32 v[20:21], v[34:35], v[6:7] op_sel:[0,1] op_sel_hi:[0,0] neg_lo:[0,1]
	v_pk_fma_f32 v[6:7], v[6:7], v[32:33], v[20:21] op_sel_hi:[1,0,1]
	s_waitcnt lgkmcnt(0)
	v_pk_mul_f32 v[20:21], v[34:35], v[26:27] op_sel:[0,1] op_sel_hi:[0,0] neg_lo:[0,1]
	v_pk_add_f32 v[6:7], v[8:9], v[6:7] neg_lo:[0,1] neg_hi:[0,1]
	v_pk_mul_f32 v[8:9], v[12:13], v[22:23] op_sel:[0,1] op_sel_hi:[0,0] neg_lo:[0,1]
	v_pk_fma_f32 v[8:9], v[22:23], v[30:31], v[8:9] op_sel_hi:[1,0,1]
	v_pk_fma_f32 v[20:21], v[26:27], v[32:33], v[20:21] op_sel_hi:[1,0,1]
	v_pk_add_f32 v[8:9], v[28:29], v[8:9] neg_lo:[0,1] neg_hi:[0,1]
	s_nop 0
	v_pk_add_f32 v[8:9], v[8:9], v[20:21] neg_lo:[0,1] neg_hi:[0,1]
	v_pk_add_f32 v[20:21], v[10:11], 0 neg_lo:[1,1] neg_hi:[1,1]
	s_nop 0
	v_pk_mov_b32 v[20:21], v[10:11], v[20:21] op_sel:[1,0]
	s_nop 0
	v_pk_mul_f32 v[12:13], v[12:13], v[20:21] op_sel_hi:[0,1]
	v_pk_fma_f32 v[10:11], v[10:11], v[30:31], v[12:13] op_sel_hi:[1,0,1] neg_lo:[1,0,0] neg_hi:[1,0,0]
	v_pk_add_f32 v[12:13], v[24:25], 0 neg_lo:[1,1] neg_hi:[1,1]
	s_nop 0
	v_pk_mov_b32 v[12:13], v[24:25], v[12:13] op_sel:[1,0]
	s_nop 0
	v_pk_mul_f32 v[12:13], v[34:35], v[12:13] op_sel_hi:[0,1]
	v_pk_fma_f32 v[12:13], v[24:25], v[32:33], v[12:13] op_sel_hi:[1,0,1] neg_lo:[1,0,0] neg_hi:[1,0,0]
.LBB50_18:
	s_or_b64 exec, exec, s[6:7]
	s_barrier
	s_and_saveexec_b64 s[6:7], s[4:5]
	s_cbranch_execz .LBB50_20
; %bb.19:
	ds_write_b64 v18, v[6:7]
	ds_write_b64 v15, v[8:9]
	;; [unrolled: 1-line block ×4, first 2 shown]
.LBB50_20:
	s_or_b64 exec, exec, s[6:7]
	s_waitcnt lgkmcnt(0)
	s_barrier
	s_and_saveexec_b64 s[6:7], s[4:5]
	s_cbranch_execz .LBB50_22
; %bb.21:
	v_sub_u32_e64 v6, v0, 8 clamp
	v_lshlrev_b32_e32 v19, 3, v6
	ds_read2st64_b64 v[10:13], v19 offset0:40 offset1:41
	ds_read_b64 v[20:21], v16
	v_min_u32_e32 v6, 55, v0
	v_lshlrev_b32_e32 v6, 3, v6
	v_add_u32_e32 v31, 64, v6
	s_waitcnt lgkmcnt(1)
	v_mul_f32_e32 v7, v13, v13
	v_fmac_f32_e32 v7, v12, v12
	v_div_scale_f32 v8, s[8:9], v7, v7, 1.0
	v_rcp_f32_e32 v9, v8
	v_div_scale_f32 v22, vcc, 1.0, v7, 1.0
	v_fma_f32 v23, -v8, v9, 1.0
	v_fmac_f32_e32 v9, v23, v9
	v_mul_f32_e32 v23, v22, v9
	v_fma_f32 v24, -v8, v23, v22
	v_fmac_f32_e32 v23, v24, v9
	v_fma_f32 v8, -v8, v23, v22
	v_div_fmas_f32 v8, v8, v9, v23
	v_div_fixup_f32 v22, v8, v7, 1.0
	ds_read2st64_b64 v[6:9], v31 offset0:40 offset1:41
	ds_read_b64 v[24:25], v17
	ds_read_b64 v[26:27], v18
	;; [unrolled: 1-line block ×3, first 2 shown]
	s_waitcnt lgkmcnt(4)
	v_mul_f32_e32 v23, v13, v21
	v_fmac_f32_e32 v23, v20, v12
	v_mul_f32_e32 v30, v22, v23
	s_waitcnt lgkmcnt(3)
	v_mul_f32_e32 v23, v9, v9
	v_fmac_f32_e32 v23, v8, v8
	v_div_scale_f32 v32, s[8:9], v23, v23, 1.0
	v_rcp_f32_e32 v33, v32
	v_mul_f32_e64 v13, v13, -v20
	v_fmac_f32_e32 v13, v21, v12
	v_mul_f32_e32 v12, v13, v22
	v_fma_f32 v13, -v32, v33, 1.0
	v_fmac_f32_e32 v33, v13, v33
	v_div_scale_f32 v13, vcc, 1.0, v23, 1.0
	v_mul_f32_e32 v20, v13, v33
	v_fma_f32 v21, -v32, v20, v13
	v_fmac_f32_e32 v20, v21, v33
	v_fma_f32 v13, -v32, v20, v13
	v_div_fmas_f32 v13, v13, v33, v20
	v_div_fixup_f32 v13, v13, v23, 1.0
	ds_read2st64_b64 v[20:23], v19 offset0:42 offset1:44
	s_waitcnt lgkmcnt(3)
	v_mul_f32_e32 v32, v9, v25
	v_mul_f32_e64 v9, v9, -v24
	v_fmac_f32_e32 v9, v25, v8
	v_fmac_f32_e32 v32, v24, v8
	v_mul_f32_e32 v34, v9, v13
	s_waitcnt lgkmcnt(0)
	v_pk_mul_f32 v[8:9], v[12:13], v[20:21] op_sel:[0,1] op_sel_hi:[0,0] neg_lo:[0,1]
	v_pk_fma_f32 v[8:9], v[20:21], v[30:31], v[8:9] op_sel_hi:[1,0,1]
	v_mul_f32_e32 v32, v13, v32
	v_pk_add_f32 v[8:9], v[26:27], v[8:9] neg_lo:[0,1] neg_hi:[0,1]
	ds_read2st64_b64 v[24:27], v31 offset0:42 offset1:44
	v_pk_mul_f32 v[20:21], v[34:35], v[6:7] op_sel:[0,1] op_sel_hi:[0,0] neg_lo:[0,1]
	v_pk_fma_f32 v[6:7], v[6:7], v[32:33], v[20:21] op_sel_hi:[1,0,1]
	s_waitcnt lgkmcnt(0)
	v_pk_mul_f32 v[20:21], v[34:35], v[26:27] op_sel:[0,1] op_sel_hi:[0,0] neg_lo:[0,1]
	v_pk_add_f32 v[6:7], v[8:9], v[6:7] neg_lo:[0,1] neg_hi:[0,1]
	v_pk_mul_f32 v[8:9], v[12:13], v[22:23] op_sel:[0,1] op_sel_hi:[0,0] neg_lo:[0,1]
	v_pk_fma_f32 v[8:9], v[22:23], v[30:31], v[8:9] op_sel_hi:[1,0,1]
	v_pk_fma_f32 v[20:21], v[26:27], v[32:33], v[20:21] op_sel_hi:[1,0,1]
	v_pk_add_f32 v[8:9], v[28:29], v[8:9] neg_lo:[0,1] neg_hi:[0,1]
	s_nop 0
	v_pk_add_f32 v[8:9], v[8:9], v[20:21] neg_lo:[0,1] neg_hi:[0,1]
	v_pk_add_f32 v[20:21], v[10:11], 0 neg_lo:[1,1] neg_hi:[1,1]
	s_nop 0
	v_pk_mov_b32 v[20:21], v[10:11], v[20:21] op_sel:[1,0]
	s_nop 0
	v_pk_mul_f32 v[12:13], v[12:13], v[20:21] op_sel_hi:[0,1]
	v_pk_fma_f32 v[10:11], v[10:11], v[30:31], v[12:13] op_sel_hi:[1,0,1] neg_lo:[1,0,0] neg_hi:[1,0,0]
	v_pk_add_f32 v[12:13], v[24:25], 0 neg_lo:[1,1] neg_hi:[1,1]
	s_nop 0
	v_pk_mov_b32 v[12:13], v[24:25], v[12:13] op_sel:[1,0]
	s_nop 0
	v_pk_mul_f32 v[12:13], v[34:35], v[12:13] op_sel_hi:[0,1]
	v_pk_fma_f32 v[12:13], v[24:25], v[32:33], v[12:13] op_sel_hi:[1,0,1] neg_lo:[1,0,0] neg_hi:[1,0,0]
.LBB50_22:
	s_or_b64 exec, exec, s[6:7]
	s_barrier
	s_and_saveexec_b64 s[6:7], s[4:5]
	s_cbranch_execz .LBB50_24
; %bb.23:
	ds_write_b64 v18, v[6:7]
	ds_write_b64 v15, v[8:9]
	;; [unrolled: 1-line block ×4, first 2 shown]
.LBB50_24:
	s_or_b64 exec, exec, s[6:7]
	s_waitcnt lgkmcnt(0)
	s_barrier
	s_and_saveexec_b64 s[6:7], s[4:5]
	s_cbranch_execz .LBB50_26
; %bb.25:
	v_sub_u32_e64 v6, v0, 16 clamp
	v_lshlrev_b32_e32 v19, 3, v6
	ds_read2st64_b64 v[10:13], v19 offset0:40 offset1:41
	ds_read_b64 v[20:21], v16
	v_min_u32_e32 v6, 47, v0
	v_lshlrev_b32_e32 v6, 3, v6
	v_add_u32_e32 v31, 0x80, v6
	s_waitcnt lgkmcnt(1)
	v_mul_f32_e32 v7, v13, v13
	v_fmac_f32_e32 v7, v12, v12
	v_div_scale_f32 v8, s[8:9], v7, v7, 1.0
	v_rcp_f32_e32 v9, v8
	v_div_scale_f32 v22, vcc, 1.0, v7, 1.0
	v_fma_f32 v23, -v8, v9, 1.0
	v_fmac_f32_e32 v9, v23, v9
	v_mul_f32_e32 v23, v22, v9
	v_fma_f32 v24, -v8, v23, v22
	v_fmac_f32_e32 v23, v24, v9
	v_fma_f32 v8, -v8, v23, v22
	v_div_fmas_f32 v8, v8, v9, v23
	v_div_fixup_f32 v22, v8, v7, 1.0
	ds_read2st64_b64 v[6:9], v31 offset0:40 offset1:41
	ds_read_b64 v[24:25], v17
	ds_read_b64 v[26:27], v18
	;; [unrolled: 1-line block ×3, first 2 shown]
	s_waitcnt lgkmcnt(4)
	v_mul_f32_e32 v23, v13, v21
	v_fmac_f32_e32 v23, v20, v12
	v_mul_f32_e32 v30, v22, v23
	s_waitcnt lgkmcnt(3)
	v_mul_f32_e32 v23, v9, v9
	v_fmac_f32_e32 v23, v8, v8
	v_div_scale_f32 v32, s[8:9], v23, v23, 1.0
	v_rcp_f32_e32 v33, v32
	v_mul_f32_e64 v13, v13, -v20
	v_fmac_f32_e32 v13, v21, v12
	v_mul_f32_e32 v12, v13, v22
	v_fma_f32 v13, -v32, v33, 1.0
	v_fmac_f32_e32 v33, v13, v33
	v_div_scale_f32 v13, vcc, 1.0, v23, 1.0
	v_mul_f32_e32 v20, v13, v33
	v_fma_f32 v21, -v32, v20, v13
	v_fmac_f32_e32 v20, v21, v33
	v_fma_f32 v13, -v32, v20, v13
	v_div_fmas_f32 v13, v13, v33, v20
	v_div_fixup_f32 v13, v13, v23, 1.0
	ds_read2st64_b64 v[20:23], v19 offset0:42 offset1:44
	s_waitcnt lgkmcnt(3)
	v_mul_f32_e32 v32, v9, v25
	v_mul_f32_e64 v9, v9, -v24
	v_fmac_f32_e32 v9, v25, v8
	v_fmac_f32_e32 v32, v24, v8
	v_mul_f32_e32 v34, v9, v13
	s_waitcnt lgkmcnt(0)
	v_pk_mul_f32 v[8:9], v[12:13], v[20:21] op_sel:[0,1] op_sel_hi:[0,0] neg_lo:[0,1]
	v_pk_fma_f32 v[8:9], v[20:21], v[30:31], v[8:9] op_sel_hi:[1,0,1]
	v_xor_b32_e32 v20, 0x80000000, v7
	v_pk_add_f32 v[8:9], v[26:27], v[8:9] neg_lo:[0,1] neg_hi:[0,1]
	ds_read2st64_b64 v[24:27], v31 offset0:42 offset1:44
	v_mov_b32_e32 v21, v6
	v_mul_f32_e32 v32, v13, v32
	v_pk_mul_f32 v[20:21], v[34:35], v[20:21] op_sel_hi:[0,1]
	v_pk_fma_f32 v[6:7], v[6:7], v[32:33], v[20:21] op_sel_hi:[1,0,1]
	s_waitcnt lgkmcnt(0)
	v_xor_b32_e32 v20, 0x80000000, v27
	v_pk_add_f32 v[6:7], v[8:9], v[6:7] neg_lo:[0,1] neg_hi:[0,1]
	v_pk_mul_f32 v[8:9], v[12:13], v[22:23] op_sel:[0,1] op_sel_hi:[0,0] neg_lo:[0,1]
	v_mov_b32_e32 v21, v26
	v_pk_fma_f32 v[8:9], v[22:23], v[30:31], v[8:9] op_sel_hi:[1,0,1]
	v_pk_mul_f32 v[20:21], v[34:35], v[20:21] op_sel_hi:[0,1]
	v_pk_add_f32 v[8:9], v[28:29], v[8:9] neg_lo:[0,1] neg_hi:[0,1]
	v_pk_fma_f32 v[20:21], v[26:27], v[32:33], v[20:21] op_sel_hi:[1,0,1]
	s_nop 0
	v_pk_add_f32 v[8:9], v[8:9], v[20:21] neg_lo:[0,1] neg_hi:[0,1]
	v_pk_add_f32 v[20:21], v[10:11], 0 neg_lo:[1,1] neg_hi:[1,1]
	s_nop 0
	v_pk_mov_b32 v[20:21], v[10:11], v[20:21] op_sel:[1,0]
	s_nop 0
	v_pk_mul_f32 v[12:13], v[12:13], v[20:21] op_sel_hi:[0,1]
	v_pk_fma_f32 v[10:11], v[10:11], v[30:31], v[12:13] op_sel_hi:[1,0,1] neg_lo:[1,0,0] neg_hi:[1,0,0]
	v_pk_add_f32 v[12:13], v[24:25], 0 neg_lo:[1,1] neg_hi:[1,1]
	s_nop 0
	v_pk_mov_b32 v[12:13], v[24:25], v[12:13] op_sel:[1,0]
	s_nop 0
	v_pk_mul_f32 v[12:13], v[34:35], v[12:13] op_sel_hi:[0,1]
	v_pk_fma_f32 v[12:13], v[24:25], v[32:33], v[12:13] op_sel_hi:[1,0,1] neg_lo:[1,0,0] neg_hi:[1,0,0]
.LBB50_26:
	s_or_b64 exec, exec, s[6:7]
	s_barrier
	s_and_saveexec_b64 s[6:7], s[4:5]
	s_cbranch_execz .LBB50_28
; %bb.27:
	ds_write_b64 v18, v[6:7]
	ds_write_b64 v15, v[8:9]
	;; [unrolled: 1-line block ×4, first 2 shown]
.LBB50_28:
	s_or_b64 exec, exec, s[6:7]
	v_cmp_gt_u32_e32 vcc, 32, v0
	s_waitcnt lgkmcnt(0)
	s_barrier
	s_and_saveexec_b64 s[6:7], vcc
	s_cbranch_execz .LBB50_30
; %bb.29:
	ds_read2_b64 v[6:9], v18 offset1:32
	ds_read_b64 v[10:11], v17
	ds_read_b32 v12, v15
	ds_read_b64 v[18:19], v15
	ds_read_b64 v[16:17], v16 offset:256
	s_waitcnt lgkmcnt(4)
	v_xor_b32_e32 v20, 0x80000000, v9
	s_waitcnt lgkmcnt(3)
	v_xor_b32_e32 v22, 0x80000000, v11
	v_mov_b32_e32 v21, v8
	v_mov_b32_e32 v23, v10
	v_pk_mul_f32 v[24:25], v[6:7], v[20:21] op_sel:[1,0]
	s_waitcnt lgkmcnt(0)
	v_pk_mul_f32 v[26:27], v[16:17], v[22:23] op_sel:[1,0]
	v_pk_fma_f32 v[24:25], v[8:9], v[6:7], v[24:25] op_sel_hi:[1,0,1]
	v_pk_fma_f32 v[26:27], v[10:11], v[16:17], v[26:27] op_sel_hi:[1,0,1]
	s_nop 0
	v_pk_add_f32 v[24:25], v[24:25], v[26:27] neg_lo:[0,1] neg_hi:[0,1]
	ds_read2_b32 v[26:27], v15 offset0:1 offset1:64
	ds_read_b32 v28, v15 offset:260
	v_mul_f32_e32 v13, v25, v25
	v_fmac_f32_e32 v13, v24, v24
	v_div_scale_f32 v29, s[8:9], v13, v13, 1.0
	v_rcp_f32_e32 v30, v29
	s_waitcnt lgkmcnt(1)
	v_pk_mul_f32 v[20:21], v[26:27], v[20:21] op_sel_hi:[0,1]
	v_fma_f32 v31, -v29, v30, 1.0
	v_fmac_f32_e32 v30, v31, v30
	v_div_scale_f32 v31, vcc, 1.0, v13, 1.0
	v_mul_f32_e32 v32, v31, v30
	v_fma_f32 v33, -v29, v32, v31
	v_fmac_f32_e32 v32, v33, v30
	v_fma_f32 v29, -v29, v32, v31
	v_div_fmas_f32 v29, v29, v30, v32
	v_div_fixup_f32 v13, v29, v13, 1.0
	v_fma_f32 v29, 0, v25, v24
	v_fma_f32 v24, v24, 0, -v25
	v_mul_f32_e32 v30, v29, v13
	v_mul_f32_e32 v24, v24, v13
	v_pk_fma_f32 v[8:9], v[8:9], v[12:13], v[20:21] op_sel_hi:[1,0,1]
	ds_read_b64 v[12:13], v15 offset:256
	s_waitcnt lgkmcnt(1)
	v_pk_mul_f32 v[20:21], v[28:29], v[22:23] op_sel_hi:[0,1]
	v_mov_b32_e32 v22, v27
	v_pk_fma_f32 v[10:11], v[10:11], v[22:23], v[20:21] op_sel_hi:[1,0,1]
	s_nop 0
	v_pk_add_f32 v[8:9], v[8:9], v[10:11] neg_lo:[0,1] neg_hi:[0,1]
	s_nop 0
	v_xor_b32_e32 v10, 0x80000000, v9
	v_mov_b32_e32 v11, v8
	v_pk_mul_f32 v[10:11], v[24:25], v[10:11] op_sel_hi:[0,1]
	v_pk_fma_f32 v[8:9], v[8:9], v[30:31], v[10:11] op_sel_hi:[1,0,1]
	s_waitcnt lgkmcnt(0)
	v_xor_b32_e32 v10, 0x80000000, v13
	v_mov_b32_e32 v11, v12
	v_pk_mul_f32 v[10:11], v[6:7], v[10:11] op_sel:[1,0]
	s_nop 0
	v_pk_fma_f32 v[6:7], v[12:13], v[6:7], v[10:11] op_sel_hi:[1,0,1]
	v_xor_b32_e32 v10, 0x80000000, v19
	v_mov_b32_e32 v11, v18
	v_pk_mul_f32 v[10:11], v[16:17], v[10:11] op_sel:[1,0]
	s_nop 0
	v_pk_fma_f32 v[10:11], v[18:19], v[16:17], v[10:11] op_sel_hi:[1,0,1]
	s_nop 0
	v_pk_add_f32 v[6:7], v[6:7], v[10:11] neg_lo:[0,1] neg_hi:[0,1]
	s_nop 0
	v_xor_b32_e32 v10, 0x80000000, v7
	v_mov_b32_e32 v11, v6
	v_pk_mul_f32 v[10:11], v[24:25], v[10:11] op_sel_hi:[0,1]
	v_pk_fma_f32 v[6:7], v[6:7], v[30:31], v[10:11] op_sel_hi:[1,0,1]
	v_add_u32_e32 v10, 0x5000, v14
	ds_write2_b64 v10, v[8:9], v[6:7] offset0:192 offset1:224
.LBB50_30:
	s_or_b64 exec, exec, s[6:7]
	s_waitcnt lgkmcnt(0)
	s_barrier
	s_and_saveexec_b64 s[6:7], s[4:5]
	s_cbranch_execz .LBB50_32
; %bb.31:
	ds_read_b64 v[6:7], v14 offset:22016
	s_waitcnt lgkmcnt(0)
	ds_write_b64 v1, v[6:7] offset:12280
.LBB50_32:
	s_or_b64 exec, exec, s[6:7]
	s_waitcnt lgkmcnt(0)
	s_barrier
	s_and_saveexec_b64 s[6:7], s[4:5]
	s_cbranch_execz .LBB50_38
; %bb.33:
	v_mov_b32_e32 v1, 0x4000
	v_cmp_ne_u32_e32 vcc, 0, v0
	v_lshl_or_b32 v8, v0, 6, v1
	v_lshlrev_b32_e32 v1, 3, v14
                                        ; implicit-def: $vgpr6_vgpr7
	s_and_saveexec_b64 s[4:5], vcc
	s_xor_b64 s[4:5], exec, s[4:5]
	s_cbranch_execz .LBB50_35
; %bb.34:
	v_add_u32_e32 v6, 24, v1
	ds_read2st64_b64 v[10:13], v6 offset1:8
	v_add_u32_e32 v6, 0x2c00, v1
	ds_read_b64 v[16:17], v8 offset:24
	ds_read_b64 v[18:19], v1 offset:8216
	ds_read2_b64 v[6:9], v6 offset0:127 offset1:135
	s_waitcnt lgkmcnt(3)
	v_mul_f32_e32 v15, v13, v13
	v_fmac_f32_e32 v15, v12, v12
	v_div_scale_f32 v20, s[8:9], v15, v15, 1.0
	v_rcp_f32_e32 v21, v20
	v_div_scale_f32 v22, vcc, 1.0, v15, 1.0
	v_fma_f32 v23, -v20, v21, 1.0
	v_fmac_f32_e32 v21, v23, v21
	v_mul_f32_e32 v23, v22, v21
	v_fma_f32 v24, -v20, v23, v22
	v_fmac_f32_e32 v23, v24, v21
	v_fma_f32 v20, -v20, v23, v22
	v_div_fmas_f32 v20, v20, v21, v23
	s_waitcnt lgkmcnt(0)
	v_pk_mul_f32 v[22:23], v[6:7], v[10:11] op_sel:[1,1] op_sel_hi:[1,0] neg_lo:[0,1]
	v_div_fixup_f32 v20, v20, v15, 1.0
	v_pk_fma_f32 v[6:7], v[10:11], v[6:7], v[22:23] op_sel_hi:[1,0,1]
	v_xor_b32_e32 v10, 0x80000000, v19
	v_mov_b32_e32 v11, v18
	v_pk_mul_f32 v[10:11], v[8:9], v[10:11] op_sel:[1,0]
	v_pk_add_f32 v[6:7], v[16:17], v[6:7] neg_lo:[0,1] neg_hi:[0,1]
	v_pk_fma_f32 v[8:9], v[18:19], v[8:9], v[10:11] op_sel_hi:[1,0,1]
	s_nop 0
	v_pk_add_f32 v[6:7], v[6:7], v[8:9] neg_lo:[0,1] neg_hi:[0,1]
	s_nop 0
	v_xor_b32_e32 v9, 0x80000000, v6
	v_mov_b32_e32 v8, v7
	v_pk_mul_f32 v[8:9], v[12:13], v[8:9] op_sel:[1,0]
	s_nop 0
	v_pk_fma_f32 v[6:7], v[6:7], v[12:13], v[8:9] op_sel_hi:[1,0,1]
                                        ; implicit-def: $vgpr8
	s_nop 0
	v_pk_mul_f32 v[6:7], v[20:21], v[6:7] op_sel_hi:[0,1]
.LBB50_35:
	s_andn2_saveexec_b64 s[4:5], s[4:5]
	s_cbranch_execz .LBB50_37
; %bb.36:
	v_add_u32_e32 v6, 24, v1
	ds_read2st64_b64 v[10:13], v6 offset0:8 offset1:16
	ds_read_b64 v[6:7], v1 offset:12344
	ds_read_b64 v[8:9], v8 offset:24
	s_waitcnt lgkmcnt(2)
	v_mul_f32_e32 v15, v11, v11
	v_fmac_f32_e32 v15, v10, v10
	v_div_scale_f32 v17, s[8:9], v15, v15, 1.0
	v_rcp_f32_e32 v18, v17
	v_div_scale_f32 v19, vcc, 1.0, v15, 1.0
	v_xor_b32_e32 v16, 0x80000000, v13
	v_fma_f32 v20, -v17, v18, 1.0
	v_fmac_f32_e32 v18, v20, v18
	v_mul_f32_e32 v20, v19, v18
	v_fma_f32 v21, -v17, v20, v19
	v_fmac_f32_e32 v20, v21, v18
	v_fma_f32 v17, -v17, v20, v19
	v_div_fmas_f32 v17, v17, v18, v20
	v_div_fixup_f32 v18, v17, v15, 1.0
	v_mov_b32_e32 v17, v12
	s_waitcnt lgkmcnt(1)
	v_pk_mul_f32 v[16:17], v[6:7], v[16:17] op_sel:[1,0]
	s_nop 0
	v_pk_fma_f32 v[6:7], v[12:13], v[6:7], v[16:17] op_sel_hi:[1,0,1]
	s_waitcnt lgkmcnt(0)
	v_pk_add_f32 v[6:7], v[8:9], v[6:7] neg_lo:[0,1] neg_hi:[0,1]
	s_nop 0
	v_xor_b32_e32 v9, 0x80000000, v6
	v_mov_b32_e32 v8, v7
	v_pk_mul_f32 v[8:9], v[10:11], v[8:9] op_sel:[1,0]
	s_nop 0
	v_pk_fma_f32 v[6:7], v[6:7], v[10:11], v[8:9] op_sel_hi:[1,0,1]
	s_nop 0
	v_pk_mul_f32 v[6:7], v[18:19], v[6:7] op_sel_hi:[0,1]
.LBB50_37:
	s_or_b64 exec, exec, s[4:5]
	ds_write_b64 v1, v[6:7] offset:12312
.LBB50_38:
	s_or_b64 exec, exec, s[6:7]
	s_waitcnt lgkmcnt(0)
	s_barrier
	s_and_saveexec_b64 s[4:5], s[2:3]
	s_cbranch_execz .LBB50_44
; %bb.39:
	v_lshlrev_b32_e32 v1, 2, v0
	v_mov_b32_e32 v6, 0x4000
	v_cmp_ne_u32_e32 vcc, 0, v0
	v_lshl_or_b32 v8, v0, 5, v6
	v_lshlrev_b32_e32 v1, 3, v1
                                        ; implicit-def: $vgpr6_vgpr7
	s_and_saveexec_b64 s[2:3], vcc
	s_xor_b64 s[2:3], exec, s[2:3]
	s_cbranch_execz .LBB50_41
; %bb.40:
	v_add_u32_e32 v6, 8, v1
	ds_read2st64_b64 v[10:13], v6 offset1:8
	v_add_u32_e32 v6, 0x2c00, v1
	ds_read_b64 v[16:17], v8 offset:8
	ds_read_b64 v[18:19], v1 offset:8200
	ds_read2_b64 v[6:9], v6 offset0:127 offset1:131
	s_waitcnt lgkmcnt(3)
	v_mul_f32_e32 v15, v13, v13
	v_fmac_f32_e32 v15, v12, v12
	v_div_scale_f32 v20, s[6:7], v15, v15, 1.0
	v_rcp_f32_e32 v21, v20
	v_div_scale_f32 v22, vcc, 1.0, v15, 1.0
	v_fma_f32 v23, -v20, v21, 1.0
	v_fmac_f32_e32 v21, v23, v21
	v_mul_f32_e32 v23, v22, v21
	v_fma_f32 v24, -v20, v23, v22
	v_fmac_f32_e32 v23, v24, v21
	v_fma_f32 v20, -v20, v23, v22
	v_div_fmas_f32 v20, v20, v21, v23
	s_waitcnt lgkmcnt(0)
	v_pk_mul_f32 v[22:23], v[6:7], v[10:11] op_sel:[1,1] op_sel_hi:[1,0] neg_lo:[0,1]
	v_div_fixup_f32 v20, v20, v15, 1.0
	v_pk_fma_f32 v[6:7], v[10:11], v[6:7], v[22:23] op_sel_hi:[1,0,1]
	v_xor_b32_e32 v10, 0x80000000, v19
	v_mov_b32_e32 v11, v18
	v_pk_mul_f32 v[10:11], v[8:9], v[10:11] op_sel:[1,0]
	v_pk_add_f32 v[6:7], v[16:17], v[6:7] neg_lo:[0,1] neg_hi:[0,1]
	v_pk_fma_f32 v[8:9], v[18:19], v[8:9], v[10:11] op_sel_hi:[1,0,1]
	s_nop 0
	v_pk_add_f32 v[6:7], v[6:7], v[8:9] neg_lo:[0,1] neg_hi:[0,1]
	s_nop 0
	v_xor_b32_e32 v9, 0x80000000, v6
	v_mov_b32_e32 v8, v7
	v_pk_mul_f32 v[8:9], v[12:13], v[8:9] op_sel:[1,0]
	s_nop 0
	v_pk_fma_f32 v[6:7], v[6:7], v[12:13], v[8:9] op_sel_hi:[1,0,1]
                                        ; implicit-def: $vgpr8
	s_nop 0
	v_pk_mul_f32 v[6:7], v[20:21], v[6:7] op_sel_hi:[0,1]
.LBB50_41:
	s_andn2_saveexec_b64 s[2:3], s[2:3]
	s_cbranch_execz .LBB50_43
; %bb.42:
	v_add_u32_e32 v6, 8, v1
	ds_read2st64_b64 v[10:13], v6 offset0:8 offset1:16
	ds_read_b64 v[6:7], v1 offset:12312
	ds_read_b64 v[8:9], v8 offset:8
	s_waitcnt lgkmcnt(2)
	v_mul_f32_e32 v15, v11, v11
	v_fmac_f32_e32 v15, v10, v10
	v_div_scale_f32 v17, s[6:7], v15, v15, 1.0
	v_rcp_f32_e32 v18, v17
	v_div_scale_f32 v19, vcc, 1.0, v15, 1.0
	v_xor_b32_e32 v16, 0x80000000, v13
	v_fma_f32 v20, -v17, v18, 1.0
	v_fmac_f32_e32 v18, v20, v18
	v_mul_f32_e32 v20, v19, v18
	v_fma_f32 v21, -v17, v20, v19
	v_fmac_f32_e32 v20, v21, v18
	v_fma_f32 v17, -v17, v20, v19
	v_div_fmas_f32 v17, v17, v18, v20
	v_div_fixup_f32 v18, v17, v15, 1.0
	v_mov_b32_e32 v17, v12
	s_waitcnt lgkmcnt(1)
	v_pk_mul_f32 v[16:17], v[6:7], v[16:17] op_sel:[1,0]
	s_nop 0
	v_pk_fma_f32 v[6:7], v[12:13], v[6:7], v[16:17] op_sel_hi:[1,0,1]
	s_waitcnt lgkmcnt(0)
	v_pk_add_f32 v[6:7], v[8:9], v[6:7] neg_lo:[0,1] neg_hi:[0,1]
	s_nop 0
	v_xor_b32_e32 v9, 0x80000000, v6
	v_mov_b32_e32 v8, v7
	v_pk_mul_f32 v[8:9], v[10:11], v[8:9] op_sel:[1,0]
	s_nop 0
	v_pk_fma_f32 v[6:7], v[6:7], v[10:11], v[8:9] op_sel_hi:[1,0,1]
	s_nop 0
	v_pk_mul_f32 v[6:7], v[18:19], v[6:7] op_sel_hi:[0,1]
.LBB50_43:
	s_or_b64 exec, exec, s[2:3]
	ds_write_b64 v1, v[6:7] offset:12296
.LBB50_44:
	s_or_b64 exec, exec, s[4:5]
	s_waitcnt lgkmcnt(0)
	s_barrier
	s_and_saveexec_b64 s[2:3], s[0:1]
	s_cbranch_execz .LBB50_50
; %bb.45:
	v_lshlrev_b32_e32 v1, 1, v0
	v_mov_b32_e32 v6, 0x4000
	v_cmp_ne_u32_e32 vcc, 0, v0
	v_lshl_or_b32 v7, v0, 4, v6
	v_lshlrev_b32_e32 v6, 3, v1
                                        ; implicit-def: $vgpr0_vgpr1
	s_and_saveexec_b64 s[0:1], vcc
	s_xor_b64 s[0:1], exec, s[0:1]
	s_cbranch_execz .LBB50_47
; %bb.46:
	ds_read2st64_b64 v[8:11], v6 offset1:8
	ds_read_b64 v[0:1], v7
	ds_read_b64 v[12:13], v6 offset:8192
	v_add_u32_e32 v15, 0x2c00, v6
	ds_read2_b64 v[16:19], v15 offset0:127 offset1:129
	s_waitcnt lgkmcnt(3)
	v_mul_f32_e32 v7, v11, v11
	v_fmac_f32_e32 v7, v10, v10
	v_div_scale_f32 v20, s[4:5], v7, v7, 1.0
	v_rcp_f32_e32 v21, v20
	v_div_scale_f32 v15, vcc, 1.0, v7, 1.0
	v_fma_f32 v22, -v20, v21, 1.0
	v_fmac_f32_e32 v21, v22, v21
	v_mul_f32_e32 v22, v15, v21
	v_fma_f32 v23, -v20, v22, v15
	v_fmac_f32_e32 v22, v23, v21
	v_fma_f32 v15, -v20, v22, v15
	v_div_fmas_f32 v15, v15, v21, v22
	s_waitcnt lgkmcnt(0)
	v_pk_mul_f32 v[22:23], v[16:17], v[8:9] op_sel:[1,1] op_sel_hi:[1,0] neg_lo:[0,1]
	v_div_fixup_f32 v20, v15, v7, 1.0
	v_pk_fma_f32 v[8:9], v[8:9], v[16:17], v[22:23] op_sel_hi:[1,0,1]
                                        ; implicit-def: $vgpr7
	s_nop 0
	v_pk_add_f32 v[0:1], v[0:1], v[8:9] neg_lo:[0,1] neg_hi:[0,1]
	v_xor_b32_e32 v8, 0x80000000, v13
	v_mov_b32_e32 v9, v12
	v_pk_mul_f32 v[8:9], v[18:19], v[8:9] op_sel:[1,0]
	s_nop 0
	v_pk_fma_f32 v[8:9], v[12:13], v[18:19], v[8:9] op_sel_hi:[1,0,1]
	s_nop 0
	v_pk_add_f32 v[0:1], v[0:1], v[8:9] neg_lo:[0,1] neg_hi:[0,1]
	s_nop 0
	v_xor_b32_e32 v9, 0x80000000, v0
	v_mov_b32_e32 v8, v1
	v_pk_mul_f32 v[8:9], v[10:11], v[8:9] op_sel:[1,0]
	s_nop 0
	v_pk_fma_f32 v[0:1], v[0:1], v[10:11], v[8:9] op_sel_hi:[1,0,1]
	s_nop 0
	v_pk_mul_f32 v[0:1], v[20:21], v[0:1] op_sel_hi:[0,1]
.LBB50_47:
	s_andn2_saveexec_b64 s[0:1], s[0:1]
	s_cbranch_execz .LBB50_49
; %bb.48:
	ds_read2st64_b64 v[8:11], v6 offset0:8 offset1:16
	ds_read_b64 v[0:1], v6 offset:12296
	ds_read_b64 v[12:13], v7
	s_waitcnt lgkmcnt(2)
	v_mul_f32_e32 v7, v9, v9
	v_fmac_f32_e32 v7, v8, v8
	v_div_scale_f32 v15, s[4:5], v7, v7, 1.0
	v_rcp_f32_e32 v17, v15
	v_div_scale_f32 v18, vcc, 1.0, v7, 1.0
	v_xor_b32_e32 v16, 0x80000000, v11
	v_fma_f32 v19, -v15, v17, 1.0
	v_fmac_f32_e32 v17, v19, v17
	v_mul_f32_e32 v19, v18, v17
	v_fma_f32 v20, -v15, v19, v18
	v_fmac_f32_e32 v19, v20, v17
	v_fma_f32 v15, -v15, v19, v18
	v_div_fmas_f32 v15, v15, v17, v19
	v_mov_b32_e32 v17, v10
	s_waitcnt lgkmcnt(1)
	v_pk_mul_f32 v[16:17], v[0:1], v[16:17] op_sel:[1,0]
	v_div_fixup_f32 v18, v15, v7, 1.0
	v_pk_fma_f32 v[0:1], v[10:11], v[0:1], v[16:17] op_sel_hi:[1,0,1]
	s_waitcnt lgkmcnt(0)
	v_pk_add_f32 v[0:1], v[12:13], v[0:1] neg_lo:[0,1] neg_hi:[0,1]
	s_nop 0
	v_xor_b32_e32 v11, 0x80000000, v0
	v_mov_b32_e32 v10, v1
	v_pk_mul_f32 v[10:11], v[8:9], v[10:11] op_sel:[1,0]
	s_nop 0
	v_pk_fma_f32 v[0:1], v[0:1], v[8:9], v[10:11] op_sel_hi:[1,0,1]
	s_nop 0
	v_pk_mul_f32 v[0:1], v[18:19], v[0:1] op_sel_hi:[0,1]
.LBB50_49:
	s_or_b64 exec, exec, s[0:1]
	ds_write_b64 v6, v[0:1] offset:12288
.LBB50_50:
	s_or_b64 exec, exec, s[2:3]
	s_waitcnt lgkmcnt(0)
	s_barrier
	ds_read2st64_b64 v[6:9], v14 offset0:24 offset1:28
	s_waitcnt lgkmcnt(0)
	global_store_dwordx2 v[2:3], v[6:7], off
	global_store_dwordx2 v[4:5], v[8:9], off
	s_endpgm
	.section	.rodata,"a",@progbits
	.p2align	6, 0x0
	.amdhsa_kernel _ZN9rocsparseL51gtsv_nopivot_strided_batch_crpcr_pow2_shared_kernelILj256ELj64E21rocsparse_complex_numIfEEEviiiPKT1_S5_S5_PS3_
		.amdhsa_group_segment_fixed_size 23040
		.amdhsa_private_segment_fixed_size 0
		.amdhsa_kernarg_size 48
		.amdhsa_user_sgpr_count 2
		.amdhsa_user_sgpr_dispatch_ptr 0
		.amdhsa_user_sgpr_queue_ptr 0
		.amdhsa_user_sgpr_kernarg_segment_ptr 1
		.amdhsa_user_sgpr_dispatch_id 0
		.amdhsa_user_sgpr_kernarg_preload_length 0
		.amdhsa_user_sgpr_kernarg_preload_offset 0
		.amdhsa_user_sgpr_private_segment_size 0
		.amdhsa_uses_dynamic_stack 0
		.amdhsa_enable_private_segment 0
		.amdhsa_system_sgpr_workgroup_id_x 1
		.amdhsa_system_sgpr_workgroup_id_y 0
		.amdhsa_system_sgpr_workgroup_id_z 0
		.amdhsa_system_sgpr_workgroup_info 0
		.amdhsa_system_vgpr_workitem_id 0
		.amdhsa_next_free_vgpr 65
		.amdhsa_next_free_sgpr 75
		.amdhsa_accum_offset 36
		.amdhsa_reserve_vcc 1
		.amdhsa_float_round_mode_32 0
		.amdhsa_float_round_mode_16_64 0
		.amdhsa_float_denorm_mode_32 3
		.amdhsa_float_denorm_mode_16_64 3
		.amdhsa_dx10_clamp 1
		.amdhsa_ieee_mode 1
		.amdhsa_fp16_overflow 0
		.amdhsa_tg_split 0
		.amdhsa_exception_fp_ieee_invalid_op 0
		.amdhsa_exception_fp_denorm_src 0
		.amdhsa_exception_fp_ieee_div_zero 0
		.amdhsa_exception_fp_ieee_overflow 0
		.amdhsa_exception_fp_ieee_underflow 0
		.amdhsa_exception_fp_ieee_inexact 0
		.amdhsa_exception_int_div_zero 0
	.end_amdhsa_kernel
	.section	.text._ZN9rocsparseL51gtsv_nopivot_strided_batch_crpcr_pow2_shared_kernelILj256ELj64E21rocsparse_complex_numIfEEEviiiPKT1_S5_S5_PS3_,"axG",@progbits,_ZN9rocsparseL51gtsv_nopivot_strided_batch_crpcr_pow2_shared_kernelILj256ELj64E21rocsparse_complex_numIfEEEviiiPKT1_S5_S5_PS3_,comdat
.Lfunc_end50:
	.size	_ZN9rocsparseL51gtsv_nopivot_strided_batch_crpcr_pow2_shared_kernelILj256ELj64E21rocsparse_complex_numIfEEEviiiPKT1_S5_S5_PS3_, .Lfunc_end50-_ZN9rocsparseL51gtsv_nopivot_strided_batch_crpcr_pow2_shared_kernelILj256ELj64E21rocsparse_complex_numIfEEEviiiPKT1_S5_S5_PS3_
                                        ; -- End function
	.set _ZN9rocsparseL51gtsv_nopivot_strided_batch_crpcr_pow2_shared_kernelILj256ELj64E21rocsparse_complex_numIfEEEviiiPKT1_S5_S5_PS3_.num_vgpr, 36
	.set _ZN9rocsparseL51gtsv_nopivot_strided_batch_crpcr_pow2_shared_kernelILj256ELj64E21rocsparse_complex_numIfEEEviiiPKT1_S5_S5_PS3_.num_agpr, 0
	.set _ZN9rocsparseL51gtsv_nopivot_strided_batch_crpcr_pow2_shared_kernelILj256ELj64E21rocsparse_complex_numIfEEEviiiPKT1_S5_S5_PS3_.numbered_sgpr, 12
	.set _ZN9rocsparseL51gtsv_nopivot_strided_batch_crpcr_pow2_shared_kernelILj256ELj64E21rocsparse_complex_numIfEEEviiiPKT1_S5_S5_PS3_.num_named_barrier, 0
	.set _ZN9rocsparseL51gtsv_nopivot_strided_batch_crpcr_pow2_shared_kernelILj256ELj64E21rocsparse_complex_numIfEEEviiiPKT1_S5_S5_PS3_.private_seg_size, 0
	.set _ZN9rocsparseL51gtsv_nopivot_strided_batch_crpcr_pow2_shared_kernelILj256ELj64E21rocsparse_complex_numIfEEEviiiPKT1_S5_S5_PS3_.uses_vcc, 1
	.set _ZN9rocsparseL51gtsv_nopivot_strided_batch_crpcr_pow2_shared_kernelILj256ELj64E21rocsparse_complex_numIfEEEviiiPKT1_S5_S5_PS3_.uses_flat_scratch, 0
	.set _ZN9rocsparseL51gtsv_nopivot_strided_batch_crpcr_pow2_shared_kernelILj256ELj64E21rocsparse_complex_numIfEEEviiiPKT1_S5_S5_PS3_.has_dyn_sized_stack, 0
	.set _ZN9rocsparseL51gtsv_nopivot_strided_batch_crpcr_pow2_shared_kernelILj256ELj64E21rocsparse_complex_numIfEEEviiiPKT1_S5_S5_PS3_.has_recursion, 0
	.set _ZN9rocsparseL51gtsv_nopivot_strided_batch_crpcr_pow2_shared_kernelILj256ELj64E21rocsparse_complex_numIfEEEviiiPKT1_S5_S5_PS3_.has_indirect_call, 0
	.section	.AMDGPU.csdata,"",@progbits
; Kernel info:
; codeLenInByte = 7336
; TotalNumSgprs: 18
; NumVgprs: 36
; NumAgprs: 0
; TotalNumVgprs: 36
; ScratchSize: 0
; MemoryBound: 0
; FloatMode: 240
; IeeeMode: 1
; LDSByteSize: 23040 bytes/workgroup (compile time only)
; SGPRBlocks: 10
; VGPRBlocks: 8
; NumSGPRsForWavesPerEU: 81
; NumVGPRsForWavesPerEU: 65
; AccumOffset: 36
; Occupancy: 7
; WaveLimiterHint : 0
; COMPUTE_PGM_RSRC2:SCRATCH_EN: 0
; COMPUTE_PGM_RSRC2:USER_SGPR: 2
; COMPUTE_PGM_RSRC2:TRAP_HANDLER: 0
; COMPUTE_PGM_RSRC2:TGID_X_EN: 1
; COMPUTE_PGM_RSRC2:TGID_Y_EN: 0
; COMPUTE_PGM_RSRC2:TGID_Z_EN: 0
; COMPUTE_PGM_RSRC2:TIDIG_COMP_CNT: 0
; COMPUTE_PGM_RSRC3_GFX90A:ACCUM_OFFSET: 8
; COMPUTE_PGM_RSRC3_GFX90A:TG_SPLIT: 0
	.section	.text._ZN9rocsparseL44gtsv_nopivot_strided_batch_pcr_shared_kernelILj4E21rocsparse_complex_numIfEEEviiiPKT0_S5_S5_PS3_,"axG",@progbits,_ZN9rocsparseL44gtsv_nopivot_strided_batch_pcr_shared_kernelILj4E21rocsparse_complex_numIfEEEviiiPKT0_S5_S5_PS3_,comdat
	.globl	_ZN9rocsparseL44gtsv_nopivot_strided_batch_pcr_shared_kernelILj4E21rocsparse_complex_numIfEEEviiiPKT0_S5_S5_PS3_ ; -- Begin function _ZN9rocsparseL44gtsv_nopivot_strided_batch_pcr_shared_kernelILj4E21rocsparse_complex_numIfEEEviiiPKT0_S5_S5_PS3_
	.p2align	8
	.type	_ZN9rocsparseL44gtsv_nopivot_strided_batch_pcr_shared_kernelILj4E21rocsparse_complex_numIfEEEviiiPKT0_S5_S5_PS3_,@function
_ZN9rocsparseL44gtsv_nopivot_strided_batch_pcr_shared_kernelILj4E21rocsparse_complex_numIfEEEviiiPKT0_S5_S5_PS3_: ; @_ZN9rocsparseL44gtsv_nopivot_strided_batch_pcr_shared_kernelILj4E21rocsparse_complex_numIfEEEviiiPKT0_S5_S5_PS3_
; %bb.0:
	s_load_dword s3, s[0:1], 0x8
	s_load_dword s8, s[0:1], 0x0
	v_mov_b32_e32 v4, 0
	v_mov_b32_e32 v6, 0
	v_mov_b32_e32 v7, 0
	s_waitcnt lgkmcnt(0)
	s_mul_i32 s4, s3, s2
	v_add_u32_e32 v2, s4, v0
	v_cmp_gt_i32_e64 s[2:3], s8, v0
	v_ashrrev_i32_e32 v3, 31, v2
	s_and_saveexec_b64 s[4:5], s[2:3]
	s_cbranch_execz .LBB51_2
; %bb.1:
	s_load_dwordx2 s[6:7], s[0:1], 0x10
	s_waitcnt lgkmcnt(0)
	v_lshl_add_u64 v[6:7], v[2:3], 3, s[6:7]
	global_load_dwordx2 v[6:7], v[6:7], off
.LBB51_2:
	s_or_b64 exec, exec, s[4:5]
	v_lshlrev_b32_e32 v1, 3, v0
	v_mov_b32_e32 v5, 0
	s_waitcnt vmcnt(0)
	ds_write_b64 v1, v[6:7]
	s_and_saveexec_b64 s[4:5], s[2:3]
	s_cbranch_execz .LBB51_4
; %bb.3:
	s_load_dwordx2 s[6:7], s[0:1], 0x18
	s_waitcnt lgkmcnt(0)
	v_lshl_add_u64 v[4:5], v[2:3], 3, s[6:7]
	global_load_dwordx2 v[4:5], v[4:5], off
.LBB51_4:
	s_or_b64 exec, exec, s[4:5]
	s_load_dwordx2 s[4:5], s[0:1], 0x28
	s_waitcnt vmcnt(0)
	ds_write_b64 v1, v[4:5] offset:32
	v_mov_b32_e32 v4, 0
	v_mov_b32_e32 v8, 0
	;; [unrolled: 1-line block ×3, first 2 shown]
	s_and_saveexec_b64 s[6:7], s[2:3]
	s_cbranch_execz .LBB51_6
; %bb.5:
	s_load_dwordx2 s[0:1], s[0:1], 0x20
	s_waitcnt lgkmcnt(0)
	v_lshl_add_u64 v[6:7], v[2:3], 3, s[0:1]
	global_load_dwordx2 v[8:9], v[6:7], off
.LBB51_6:
	s_or_b64 exec, exec, s[6:7]
	v_or_b32_e32 v6, 32, v1
	v_or_b32_e32 v7, 64, v1
	v_mov_b32_e32 v5, 0
	s_waitcnt vmcnt(0)
	ds_write_b64 v1, v[8:9] offset:64
	s_and_saveexec_b64 s[0:1], s[2:3]
	s_cbranch_execz .LBB51_8
; %bb.7:
	s_waitcnt lgkmcnt(0)
	v_lshl_add_u64 v[4:5], v[2:3], 3, s[4:5]
	global_load_dwordx2 v[4:5], v[4:5], off
.LBB51_8:
	s_or_b64 exec, exec, s[0:1]
	s_waitcnt vmcnt(0)
	ds_write_b64 v1, v[4:5] offset:128
	v_sub_u32_e64 v4, v0, 1 clamp
	v_lshlrev_b32_e32 v16, 3, v4
	s_waitcnt lgkmcnt(0)
	; wave barrier
	ds_read2_b64 v[8:11], v16 offset1:4
	s_add_i32 s6, s8, -1
	v_add_u32_e32 v4, 1, v0
	v_min_i32_e32 v15, s6, v4
	ds_read_b64 v[4:5], v1
	s_waitcnt lgkmcnt(1)
	v_mul_f32_e32 v12, v11, v11
	v_fmac_f32_e32 v12, v10, v10
	v_div_scale_f32 v13, s[0:1], v12, v12, 1.0
	v_rcp_f32_e32 v14, v13
	v_lshlrev_b32_e32 v22, 3, v15
	v_fma_f32 v17, -v13, v14, 1.0
	v_fmac_f32_e32 v14, v17, v14
	v_div_scale_f32 v17, vcc, 1.0, v12, 1.0
	v_mul_f32_e32 v18, v17, v14
	v_fma_f32 v19, -v13, v18, v17
	v_fmac_f32_e32 v18, v19, v14
	v_fma_f32 v13, -v13, v18, v17
	v_div_fmas_f32 v13, v13, v14, v18
	v_div_fixup_f32 v17, v13, v12, 1.0
	ds_read2_b64 v[12:15], v22 offset1:4
	ds_read_b64 v[20:21], v7
	ds_read_b64 v[24:25], v6
	ds_read_b64 v[26:27], v1 offset:128
	s_waitcnt lgkmcnt(4)
	v_mul_f32_e32 v18, v11, v5
	v_fmac_f32_e32 v18, v4, v10
	v_mul_f32_e32 v28, v17, v18
	s_waitcnt lgkmcnt(3)
	v_mul_f32_e32 v18, v15, v15
	v_fmac_f32_e32 v18, v14, v14
	v_div_scale_f32 v19, s[0:1], v18, v18, 1.0
	v_rcp_f32_e32 v23, v19
	v_mul_f32_e64 v4, v11, -v4
	v_fmac_f32_e32 v4, v5, v10
	v_mul_f32_e32 v4, v4, v17
	v_fma_f32 v5, -v19, v23, 1.0
	v_fmac_f32_e32 v23, v5, v23
	v_div_scale_f32 v5, vcc, 1.0, v18, 1.0
	v_mul_f32_e32 v10, v5, v23
	v_fma_f32 v11, -v19, v10, v5
	v_fmac_f32_e32 v10, v11, v23
	v_fma_f32 v5, -v19, v10, v5
	v_div_fmas_f32 v5, v5, v23, v10
	v_div_fixup_f32 v5, v5, v18, 1.0
	ds_read2_b64 v[16:19], v16 offset0:8 offset1:16
	s_waitcnt lgkmcnt(3)
	v_mul_f32_e64 v11, v15, -v20
	v_mul_f32_e32 v10, v15, v21
	v_fmac_f32_e32 v11, v21, v14
	v_fmac_f32_e32 v10, v20, v14
	s_waitcnt lgkmcnt(0)
	v_xor_b32_e32 v30, 0x80000000, v17
	v_mov_b32_e32 v31, v16
	v_pk_mul_f32 v[30:31], v[4:5], v[30:31] op_sel_hi:[0,1]
	v_pk_fma_f32 v[16:17], v[16:17], v[28:29], v[30:31] op_sel_hi:[1,0,1]
	v_mul_f32_e32 v14, v11, v5
	ds_read2_b64 v[20:23], v22 offset0:8 offset1:16
	v_pk_add_f32 v[16:17], v[24:25], v[16:17] neg_lo:[0,1] neg_hi:[0,1]
	v_xor_b32_e32 v24, 0x80000000, v13
	v_mov_b32_e32 v25, v12
	v_mul_f32_e32 v10, v5, v10
	v_pk_mul_f32 v[24:25], v[14:15], v[24:25] op_sel_hi:[0,1]
	v_pk_fma_f32 v[12:13], v[12:13], v[10:11], v[24:25] op_sel_hi:[1,0,1]
	v_cmp_gt_u32_e32 vcc, 2, v0
	v_pk_add_f32 v[12:13], v[16:17], v[12:13] neg_lo:[0,1] neg_hi:[0,1]
	v_xor_b32_e32 v16, 0x80000000, v19
	v_mov_b32_e32 v17, v18
	v_pk_mul_f32 v[16:17], v[4:5], v[16:17] op_sel_hi:[0,1]
	v_pk_fma_f32 v[16:17], v[18:19], v[28:29], v[16:17] op_sel_hi:[1,0,1]
	s_waitcnt lgkmcnt(0)
	v_xor_b32_e32 v18, 0x80000000, v23
	v_mov_b32_e32 v19, v22
	v_pk_mul_f32 v[18:19], v[14:15], v[18:19] op_sel_hi:[0,1]
	v_pk_add_f32 v[16:17], v[26:27], v[16:17] neg_lo:[0,1] neg_hi:[0,1]
	v_pk_fma_f32 v[18:19], v[22:23], v[10:11], v[18:19] op_sel_hi:[1,0,1]
	s_nop 0
	v_pk_add_f32 v[16:17], v[16:17], v[18:19] neg_lo:[0,1] neg_hi:[0,1]
	v_pk_add_f32 v[18:19], v[8:9], 0 neg_lo:[1,1] neg_hi:[1,1]
	; wave barrier
	s_nop 0
	v_pk_mov_b32 v[18:19], v[8:9], v[18:19] op_sel:[1,0]
	s_nop 0
	v_pk_mul_f32 v[4:5], v[4:5], v[18:19] op_sel_hi:[0,1]
	v_pk_fma_f32 v[4:5], v[8:9], v[28:29], v[4:5] op_sel_hi:[1,0,1] neg_lo:[1,0,0] neg_hi:[1,0,0]
	v_pk_add_f32 v[8:9], v[20:21], 0 neg_lo:[1,1] neg_hi:[1,1]
	s_nop 0
	v_pk_mov_b32 v[8:9], v[20:21], v[8:9] op_sel:[1,0]
	s_nop 0
	v_pk_mul_f32 v[8:9], v[14:15], v[8:9] op_sel_hi:[0,1]
	v_pk_fma_f32 v[8:9], v[20:21], v[10:11], v[8:9] op_sel_hi:[1,0,1] neg_lo:[1,0,0] neg_hi:[1,0,0]
	ds_write_b64 v6, v[12:13]
	ds_write_b64 v1, v[16:17] offset:128
	ds_write_b64 v1, v[4:5]
	ds_write_b64 v7, v[8:9]
	s_waitcnt lgkmcnt(0)
	; wave barrier
	s_and_saveexec_b64 s[0:1], vcc
	s_cbranch_execz .LBB51_14
; %bb.9:
	v_or_b32_e32 v8, 2, v0
	v_or_b32_e32 v9, 0x80, v1
	v_cmp_le_i32_e32 vcc, s8, v8
                                        ; implicit-def: $vgpr4_vgpr5
	s_and_saveexec_b64 s[6:7], vcc
	s_xor_b64 s[6:7], exec, s[6:7]
	s_cbranch_execz .LBB51_11
; %bb.10:
	ds_read_b64 v[4:5], v6
	ds_read_b64 v[6:7], v9
	s_waitcnt lgkmcnt(1)
	v_mul_f32_e32 v10, v5, v5
	v_fmac_f32_e32 v10, v4, v4
	v_div_scale_f32 v11, s[8:9], v10, v10, 1.0
	v_rcp_f32_e32 v12, v11
	v_div_scale_f32 v13, vcc, 1.0, v10, 1.0
	s_waitcnt lgkmcnt(0)
	v_xor_b32_e32 v9, 0x80000000, v6
	v_fma_f32 v14, -v11, v12, 1.0
	v_fmac_f32_e32 v12, v14, v12
	v_mul_f32_e32 v14, v13, v12
	v_fma_f32 v15, -v11, v14, v13
	v_fmac_f32_e32 v14, v15, v12
	v_mov_b32_e32 v8, v7
	v_fma_f32 v11, -v11, v14, v13
	v_div_fmas_f32 v11, v11, v12, v14
	v_pk_mul_f32 v[8:9], v[4:5], v[8:9] op_sel:[1,0]
	v_div_fixup_f32 v10, v11, v10, 1.0
	v_pk_fma_f32 v[4:5], v[6:7], v[4:5], v[8:9] op_sel_hi:[1,0,1]
                                        ; implicit-def: $vgpr6
                                        ; implicit-def: $vgpr7
                                        ; implicit-def: $vgpr9
                                        ; implicit-def: $vgpr8
	s_nop 0
	v_pk_mul_f32 v[4:5], v[10:11], v[4:5] op_sel_hi:[0,1]
.LBB51_11:
	s_andn2_saveexec_b64 s[6:7], s[6:7]
	s_cbranch_execz .LBB51_13
; %bb.12:
	ds_read2_b64 v[10:13], v6 offset1:2
	ds_read_b64 v[4:5], v7
	ds_read_b32 v0, v9
	ds_read_b64 v[6:7], v9
	ds_read_b64 v[14:15], v1 offset:16
	s_waitcnt lgkmcnt(4)
	v_xor_b32_e32 v16, 0x80000000, v13
	s_waitcnt lgkmcnt(3)
	v_xor_b32_e32 v18, 0x80000000, v5
	v_mov_b32_e32 v17, v12
	v_mov_b32_e32 v19, v4
	v_pk_mul_f32 v[20:21], v[10:11], v[16:17] op_sel:[1,0]
	s_waitcnt lgkmcnt(0)
	v_pk_mul_f32 v[22:23], v[14:15], v[18:19] op_sel:[1,0]
	v_pk_fma_f32 v[20:21], v[12:13], v[10:11], v[20:21] op_sel_hi:[1,0,1]
	v_pk_fma_f32 v[22:23], v[4:5], v[14:15], v[22:23] op_sel_hi:[1,0,1]
	s_nop 0
	v_pk_add_f32 v[20:21], v[20:21], v[22:23] neg_lo:[0,1] neg_hi:[0,1]
	ds_read2_b32 v[22:23], v9 offset0:1 offset1:4
	ds_read_b64 v[24:25], v9 offset:16
	ds_read_b32 v26, v9 offset:20
	v_mul_f32_e32 v27, v21, v21
	v_fmac_f32_e32 v27, v20, v20
	v_div_scale_f32 v28, s[8:9], v27, v27, 1.0
	v_rcp_f32_e32 v29, v28
	s_waitcnt lgkmcnt(2)
	v_pk_mul_f32 v[16:17], v[22:23], v[16:17] op_sel_hi:[0,1]
	v_pk_fma_f32 v[12:13], v[12:13], v[0:1], v[16:17] op_sel_hi:[1,0,1]
	v_mov_b32_e32 v0, v23
	v_fma_f32 v9, -v28, v29, 1.0
	v_fmac_f32_e32 v29, v9, v29
	v_div_scale_f32 v9, vcc, 1.0, v27, 1.0
	v_mul_f32_e32 v30, v9, v29
	v_fma_f32 v31, -v28, v30, v9
	v_fmac_f32_e32 v30, v31, v29
	v_fma_f32 v9, -v28, v30, v9
	v_div_fmas_f32 v9, v9, v29, v30
	v_div_fixup_f32 v9, v9, v27, 1.0
	v_fma_f32 v27, 0, v21, v20
	s_waitcnt lgkmcnt(0)
	v_pk_mul_f32 v[16:17], v[26:27], v[18:19] op_sel_hi:[0,1]
	v_pk_fma_f32 v[4:5], v[4:5], v[0:1], v[16:17] op_sel_hi:[1,0,1]
	v_fma_f32 v20, v20, 0, -v21
	v_pk_add_f32 v[4:5], v[12:13], v[4:5] neg_lo:[0,1] neg_hi:[0,1]
	v_mul_f32_e32 v20, v20, v9
	v_xor_b32_e32 v12, 0x80000000, v5
	v_mov_b32_e32 v13, v4
	v_mul_f32_e32 v28, v27, v9
	v_pk_mul_f32 v[12:13], v[20:21], v[12:13] op_sel_hi:[0,1]
	v_pk_fma_f32 v[4:5], v[4:5], v[28:29], v[12:13] op_sel_hi:[1,0,1]
	ds_write_b64 v1, v[4:5] offset:96
	v_xor_b32_e32 v4, 0x80000000, v25
	v_mov_b32_e32 v5, v24
	v_pk_mul_f32 v[4:5], v[10:11], v[4:5] op_sel:[1,0]
	v_mov_b32_e32 v0, v8
	v_pk_fma_f32 v[4:5], v[24:25], v[10:11], v[4:5] op_sel_hi:[1,0,1]
	v_xor_b32_e32 v10, 0x80000000, v7
	v_mov_b32_e32 v11, v6
	v_pk_mul_f32 v[10:11], v[14:15], v[10:11] op_sel:[1,0]
	s_nop 0
	v_pk_fma_f32 v[6:7], v[6:7], v[14:15], v[10:11] op_sel_hi:[1,0,1]
	s_nop 0
	v_pk_add_f32 v[4:5], v[4:5], v[6:7] neg_lo:[0,1] neg_hi:[0,1]
	s_nop 0
	v_xor_b32_e32 v6, 0x80000000, v5
	v_mov_b32_e32 v7, v4
	v_pk_mul_f32 v[6:7], v[20:21], v[6:7] op_sel_hi:[0,1]
	v_pk_fma_f32 v[4:5], v[4:5], v[28:29], v[6:7] op_sel_hi:[1,0,1]
.LBB51_13:
	s_or_b64 exec, exec, s[6:7]
	v_lshlrev_b32_e32 v0, 3, v0
	ds_write_b64 v0, v[4:5] offset:96
.LBB51_14:
	s_or_b64 exec, exec, s[0:1]
	s_waitcnt lgkmcnt(0)
	; wave barrier
	s_and_saveexec_b64 s[0:1], s[2:3]
	s_cbranch_execz .LBB51_16
; %bb.15:
	ds_read_b64 v[0:1], v1 offset:96
	v_lshl_add_u64 v[2:3], v[2:3], 3, s[4:5]
	s_waitcnt lgkmcnt(0)
	global_store_dwordx2 v[2:3], v[0:1], off
.LBB51_16:
	s_endpgm
	.section	.rodata,"a",@progbits
	.p2align	6, 0x0
	.amdhsa_kernel _ZN9rocsparseL44gtsv_nopivot_strided_batch_pcr_shared_kernelILj4E21rocsparse_complex_numIfEEEviiiPKT0_S5_S5_PS3_
		.amdhsa_group_segment_fixed_size 160
		.amdhsa_private_segment_fixed_size 0
		.amdhsa_kernarg_size 48
		.amdhsa_user_sgpr_count 2
		.amdhsa_user_sgpr_dispatch_ptr 0
		.amdhsa_user_sgpr_queue_ptr 0
		.amdhsa_user_sgpr_kernarg_segment_ptr 1
		.amdhsa_user_sgpr_dispatch_id 0
		.amdhsa_user_sgpr_kernarg_preload_length 0
		.amdhsa_user_sgpr_kernarg_preload_offset 0
		.amdhsa_user_sgpr_private_segment_size 0
		.amdhsa_uses_dynamic_stack 0
		.amdhsa_enable_private_segment 0
		.amdhsa_system_sgpr_workgroup_id_x 1
		.amdhsa_system_sgpr_workgroup_id_y 0
		.amdhsa_system_sgpr_workgroup_id_z 0
		.amdhsa_system_sgpr_workgroup_info 0
		.amdhsa_system_vgpr_workitem_id 0
		.amdhsa_next_free_vgpr 32
		.amdhsa_next_free_sgpr 10
		.amdhsa_accum_offset 32
		.amdhsa_reserve_vcc 1
		.amdhsa_float_round_mode_32 0
		.amdhsa_float_round_mode_16_64 0
		.amdhsa_float_denorm_mode_32 3
		.amdhsa_float_denorm_mode_16_64 3
		.amdhsa_dx10_clamp 1
		.amdhsa_ieee_mode 1
		.amdhsa_fp16_overflow 0
		.amdhsa_tg_split 0
		.amdhsa_exception_fp_ieee_invalid_op 0
		.amdhsa_exception_fp_denorm_src 0
		.amdhsa_exception_fp_ieee_div_zero 0
		.amdhsa_exception_fp_ieee_overflow 0
		.amdhsa_exception_fp_ieee_underflow 0
		.amdhsa_exception_fp_ieee_inexact 0
		.amdhsa_exception_int_div_zero 0
	.end_amdhsa_kernel
	.section	.text._ZN9rocsparseL44gtsv_nopivot_strided_batch_pcr_shared_kernelILj4E21rocsparse_complex_numIfEEEviiiPKT0_S5_S5_PS3_,"axG",@progbits,_ZN9rocsparseL44gtsv_nopivot_strided_batch_pcr_shared_kernelILj4E21rocsparse_complex_numIfEEEviiiPKT0_S5_S5_PS3_,comdat
.Lfunc_end51:
	.size	_ZN9rocsparseL44gtsv_nopivot_strided_batch_pcr_shared_kernelILj4E21rocsparse_complex_numIfEEEviiiPKT0_S5_S5_PS3_, .Lfunc_end51-_ZN9rocsparseL44gtsv_nopivot_strided_batch_pcr_shared_kernelILj4E21rocsparse_complex_numIfEEEviiiPKT0_S5_S5_PS3_
                                        ; -- End function
	.set _ZN9rocsparseL44gtsv_nopivot_strided_batch_pcr_shared_kernelILj4E21rocsparse_complex_numIfEEEviiiPKT0_S5_S5_PS3_.num_vgpr, 32
	.set _ZN9rocsparseL44gtsv_nopivot_strided_batch_pcr_shared_kernelILj4E21rocsparse_complex_numIfEEEviiiPKT0_S5_S5_PS3_.num_agpr, 0
	.set _ZN9rocsparseL44gtsv_nopivot_strided_batch_pcr_shared_kernelILj4E21rocsparse_complex_numIfEEEviiiPKT0_S5_S5_PS3_.numbered_sgpr, 10
	.set _ZN9rocsparseL44gtsv_nopivot_strided_batch_pcr_shared_kernelILj4E21rocsparse_complex_numIfEEEviiiPKT0_S5_S5_PS3_.num_named_barrier, 0
	.set _ZN9rocsparseL44gtsv_nopivot_strided_batch_pcr_shared_kernelILj4E21rocsparse_complex_numIfEEEviiiPKT0_S5_S5_PS3_.private_seg_size, 0
	.set _ZN9rocsparseL44gtsv_nopivot_strided_batch_pcr_shared_kernelILj4E21rocsparse_complex_numIfEEEviiiPKT0_S5_S5_PS3_.uses_vcc, 1
	.set _ZN9rocsparseL44gtsv_nopivot_strided_batch_pcr_shared_kernelILj4E21rocsparse_complex_numIfEEEviiiPKT0_S5_S5_PS3_.uses_flat_scratch, 0
	.set _ZN9rocsparseL44gtsv_nopivot_strided_batch_pcr_shared_kernelILj4E21rocsparse_complex_numIfEEEviiiPKT0_S5_S5_PS3_.has_dyn_sized_stack, 0
	.set _ZN9rocsparseL44gtsv_nopivot_strided_batch_pcr_shared_kernelILj4E21rocsparse_complex_numIfEEEviiiPKT0_S5_S5_PS3_.has_recursion, 0
	.set _ZN9rocsparseL44gtsv_nopivot_strided_batch_pcr_shared_kernelILj4E21rocsparse_complex_numIfEEEviiiPKT0_S5_S5_PS3_.has_indirect_call, 0
	.section	.AMDGPU.csdata,"",@progbits
; Kernel info:
; codeLenInByte = 1592
; TotalNumSgprs: 16
; NumVgprs: 32
; NumAgprs: 0
; TotalNumVgprs: 32
; ScratchSize: 0
; MemoryBound: 0
; FloatMode: 240
; IeeeMode: 1
; LDSByteSize: 160 bytes/workgroup (compile time only)
; SGPRBlocks: 1
; VGPRBlocks: 3
; NumSGPRsForWavesPerEU: 16
; NumVGPRsForWavesPerEU: 32
; AccumOffset: 32
; Occupancy: 8
; WaveLimiterHint : 0
; COMPUTE_PGM_RSRC2:SCRATCH_EN: 0
; COMPUTE_PGM_RSRC2:USER_SGPR: 2
; COMPUTE_PGM_RSRC2:TRAP_HANDLER: 0
; COMPUTE_PGM_RSRC2:TGID_X_EN: 1
; COMPUTE_PGM_RSRC2:TGID_Y_EN: 0
; COMPUTE_PGM_RSRC2:TGID_Z_EN: 0
; COMPUTE_PGM_RSRC2:TIDIG_COMP_CNT: 0
; COMPUTE_PGM_RSRC3_GFX90A:ACCUM_OFFSET: 7
; COMPUTE_PGM_RSRC3_GFX90A:TG_SPLIT: 0
	.section	.text._ZN9rocsparseL44gtsv_nopivot_strided_batch_pcr_shared_kernelILj8E21rocsparse_complex_numIfEEEviiiPKT0_S5_S5_PS3_,"axG",@progbits,_ZN9rocsparseL44gtsv_nopivot_strided_batch_pcr_shared_kernelILj8E21rocsparse_complex_numIfEEEviiiPKT0_S5_S5_PS3_,comdat
	.globl	_ZN9rocsparseL44gtsv_nopivot_strided_batch_pcr_shared_kernelILj8E21rocsparse_complex_numIfEEEviiiPKT0_S5_S5_PS3_ ; -- Begin function _ZN9rocsparseL44gtsv_nopivot_strided_batch_pcr_shared_kernelILj8E21rocsparse_complex_numIfEEEviiiPKT0_S5_S5_PS3_
	.p2align	8
	.type	_ZN9rocsparseL44gtsv_nopivot_strided_batch_pcr_shared_kernelILj8E21rocsparse_complex_numIfEEEviiiPKT0_S5_S5_PS3_,@function
_ZN9rocsparseL44gtsv_nopivot_strided_batch_pcr_shared_kernelILj8E21rocsparse_complex_numIfEEEviiiPKT0_S5_S5_PS3_: ; @_ZN9rocsparseL44gtsv_nopivot_strided_batch_pcr_shared_kernelILj8E21rocsparse_complex_numIfEEEviiiPKT0_S5_S5_PS3_
; %bb.0:
	s_load_dword s3, s[0:1], 0x8
	s_load_dword s8, s[0:1], 0x0
	v_mov_b32_e32 v4, 0
	v_mov_b32_e32 v6, 0
	;; [unrolled: 1-line block ×3, first 2 shown]
	s_waitcnt lgkmcnt(0)
	s_mul_i32 s4, s3, s2
	v_add_u32_e32 v2, s4, v0
	v_cmp_gt_i32_e64 s[2:3], s8, v0
	v_ashrrev_i32_e32 v3, 31, v2
	s_and_saveexec_b64 s[4:5], s[2:3]
	s_cbranch_execz .LBB52_2
; %bb.1:
	s_load_dwordx2 s[6:7], s[0:1], 0x10
	s_waitcnt lgkmcnt(0)
	v_lshl_add_u64 v[6:7], v[2:3], 3, s[6:7]
	global_load_dwordx2 v[6:7], v[6:7], off
.LBB52_2:
	s_or_b64 exec, exec, s[4:5]
	v_lshlrev_b32_e32 v1, 3, v0
	v_mov_b32_e32 v5, 0
	s_waitcnt vmcnt(0)
	ds_write_b64 v1, v[6:7]
	s_and_saveexec_b64 s[4:5], s[2:3]
	s_cbranch_execz .LBB52_4
; %bb.3:
	s_load_dwordx2 s[6:7], s[0:1], 0x18
	s_waitcnt lgkmcnt(0)
	v_lshl_add_u64 v[4:5], v[2:3], 3, s[6:7]
	global_load_dwordx2 v[4:5], v[4:5], off
.LBB52_4:
	s_or_b64 exec, exec, s[4:5]
	s_load_dwordx2 s[4:5], s[0:1], 0x28
	s_waitcnt vmcnt(0)
	ds_write_b64 v1, v[4:5] offset:64
	v_mov_b32_e32 v4, 0
	v_mov_b32_e32 v8, 0
	;; [unrolled: 1-line block ×3, first 2 shown]
	s_and_saveexec_b64 s[6:7], s[2:3]
	s_cbranch_execz .LBB52_6
; %bb.5:
	s_load_dwordx2 s[0:1], s[0:1], 0x20
	s_waitcnt lgkmcnt(0)
	v_lshl_add_u64 v[6:7], v[2:3], 3, s[0:1]
	global_load_dwordx2 v[8:9], v[6:7], off
.LBB52_6:
	s_or_b64 exec, exec, s[6:7]
	v_or_b32_e32 v6, 64, v1
	v_or_b32_e32 v7, 0x80, v1
	v_mov_b32_e32 v5, 0
	s_waitcnt vmcnt(0)
	ds_write_b64 v1, v[8:9] offset:128
	s_and_saveexec_b64 s[0:1], s[2:3]
	s_cbranch_execz .LBB52_8
; %bb.7:
	s_waitcnt lgkmcnt(0)
	v_lshl_add_u64 v[4:5], v[2:3], 3, s[4:5]
	global_load_dwordx2 v[4:5], v[4:5], off
.LBB52_8:
	s_or_b64 exec, exec, s[0:1]
	s_waitcnt vmcnt(0)
	ds_write_b64 v1, v[4:5] offset:256
	v_sub_u32_e64 v4, v0, 1 clamp
	v_lshlrev_b32_e32 v16, 3, v4
	s_waitcnt lgkmcnt(0)
	; wave barrier
	ds_read2_b64 v[8:11], v16 offset1:8
	s_add_i32 s6, s8, -1
	v_add_u32_e32 v4, 1, v0
	v_min_i32_e32 v15, s6, v4
	ds_read_b64 v[4:5], v1
	s_waitcnt lgkmcnt(1)
	v_mul_f32_e32 v12, v11, v11
	v_fmac_f32_e32 v12, v10, v10
	v_div_scale_f32 v13, s[0:1], v12, v12, 1.0
	v_rcp_f32_e32 v14, v13
	v_lshlrev_b32_e32 v22, 3, v15
	v_fma_f32 v17, -v13, v14, 1.0
	v_fmac_f32_e32 v14, v17, v14
	v_div_scale_f32 v17, vcc, 1.0, v12, 1.0
	v_mul_f32_e32 v18, v17, v14
	v_fma_f32 v19, -v13, v18, v17
	v_fmac_f32_e32 v18, v19, v14
	v_fma_f32 v13, -v13, v18, v17
	v_div_fmas_f32 v13, v13, v14, v18
	v_div_fixup_f32 v17, v13, v12, 1.0
	ds_read2_b64 v[12:15], v22 offset1:8
	ds_read_b64 v[20:21], v7
	ds_read_b64 v[24:25], v6
	ds_read_b64 v[26:27], v1 offset:256
	s_waitcnt lgkmcnt(4)
	v_mul_f32_e32 v18, v11, v5
	v_fmac_f32_e32 v18, v4, v10
	v_mul_f32_e32 v28, v17, v18
	s_waitcnt lgkmcnt(3)
	v_mul_f32_e32 v18, v15, v15
	v_fmac_f32_e32 v18, v14, v14
	v_div_scale_f32 v19, s[0:1], v18, v18, 1.0
	v_rcp_f32_e32 v23, v19
	v_mul_f32_e64 v4, v11, -v4
	v_fmac_f32_e32 v4, v5, v10
	v_mul_f32_e32 v4, v4, v17
	v_fma_f32 v5, -v19, v23, 1.0
	v_fmac_f32_e32 v23, v5, v23
	v_div_scale_f32 v5, vcc, 1.0, v18, 1.0
	v_mul_f32_e32 v10, v5, v23
	v_fma_f32 v11, -v19, v10, v5
	v_fmac_f32_e32 v10, v11, v23
	v_fma_f32 v5, -v19, v10, v5
	v_div_fmas_f32 v5, v5, v23, v10
	v_div_fixup_f32 v5, v5, v18, 1.0
	ds_read2_b64 v[16:19], v16 offset0:16 offset1:32
	s_waitcnt lgkmcnt(3)
	v_mul_f32_e64 v11, v15, -v20
	v_mul_f32_e32 v10, v15, v21
	v_fmac_f32_e32 v11, v21, v14
	v_fmac_f32_e32 v10, v20, v14
	s_waitcnt lgkmcnt(0)
	v_xor_b32_e32 v30, 0x80000000, v17
	v_mov_b32_e32 v31, v16
	v_pk_mul_f32 v[30:31], v[4:5], v[30:31] op_sel_hi:[0,1]
	v_pk_fma_f32 v[16:17], v[16:17], v[28:29], v[30:31] op_sel_hi:[1,0,1]
	v_mul_f32_e32 v14, v11, v5
	ds_read2_b64 v[20:23], v22 offset0:16 offset1:32
	v_pk_add_f32 v[16:17], v[24:25], v[16:17] neg_lo:[0,1] neg_hi:[0,1]
	v_xor_b32_e32 v24, 0x80000000, v13
	v_mov_b32_e32 v25, v12
	v_mul_f32_e32 v10, v5, v10
	v_pk_mul_f32 v[24:25], v[14:15], v[24:25] op_sel_hi:[0,1]
	v_pk_fma_f32 v[12:13], v[12:13], v[10:11], v[24:25] op_sel_hi:[1,0,1]
	s_waitcnt lgkmcnt(0)
	v_pk_add_f32 v[12:13], v[16:17], v[12:13] neg_lo:[0,1] neg_hi:[0,1]
	v_xor_b32_e32 v16, 0x80000000, v19
	v_mov_b32_e32 v17, v18
	v_pk_mul_f32 v[16:17], v[4:5], v[16:17] op_sel_hi:[0,1]
	v_pk_fma_f32 v[16:17], v[18:19], v[28:29], v[16:17] op_sel_hi:[1,0,1]
	v_xor_b32_e32 v18, 0x80000000, v23
	v_mov_b32_e32 v19, v22
	v_pk_mul_f32 v[18:19], v[14:15], v[18:19] op_sel_hi:[0,1]
	v_pk_add_f32 v[16:17], v[26:27], v[16:17] neg_lo:[0,1] neg_hi:[0,1]
	v_pk_fma_f32 v[18:19], v[22:23], v[10:11], v[18:19] op_sel_hi:[1,0,1]
	; wave barrier
	s_nop 0
	v_pk_add_f32 v[16:17], v[16:17], v[18:19] neg_lo:[0,1] neg_hi:[0,1]
	v_pk_add_f32 v[18:19], v[8:9], 0 neg_lo:[1,1] neg_hi:[1,1]
	s_nop 0
	v_pk_mov_b32 v[18:19], v[8:9], v[18:19] op_sel:[1,0]
	s_nop 0
	v_pk_mul_f32 v[4:5], v[4:5], v[18:19] op_sel_hi:[0,1]
	v_pk_fma_f32 v[4:5], v[8:9], v[28:29], v[4:5] op_sel_hi:[1,0,1] neg_lo:[1,0,0] neg_hi:[1,0,0]
	v_pk_add_f32 v[8:9], v[20:21], 0 neg_lo:[1,1] neg_hi:[1,1]
	s_nop 0
	v_pk_mov_b32 v[8:9], v[20:21], v[8:9] op_sel:[1,0]
	s_nop 0
	v_pk_mul_f32 v[8:9], v[14:15], v[8:9] op_sel_hi:[0,1]
	v_pk_fma_f32 v[8:9], v[20:21], v[10:11], v[8:9] op_sel_hi:[1,0,1] neg_lo:[1,0,0] neg_hi:[1,0,0]
	ds_write_b64 v6, v[12:13]
	ds_write_b64 v1, v[16:17] offset:256
	ds_write_b64 v1, v[4:5]
	ds_write_b64 v7, v[8:9]
	v_sub_u32_e64 v4, v0, 2 clamp
	v_lshlrev_b32_e32 v16, 3, v4
	s_waitcnt lgkmcnt(0)
	; wave barrier
	ds_read2_b64 v[8:11], v16 offset1:8
	v_add_u32_e32 v4, 2, v0
	v_min_i32_e32 v15, s6, v4
	ds_read_b64 v[4:5], v1
	v_lshlrev_b32_e32 v22, 3, v15
	s_waitcnt lgkmcnt(1)
	v_mul_f32_e32 v12, v11, v11
	v_fmac_f32_e32 v12, v10, v10
	v_div_scale_f32 v13, s[0:1], v12, v12, 1.0
	v_rcp_f32_e32 v14, v13
	s_nop 0
	v_fma_f32 v17, -v13, v14, 1.0
	v_fmac_f32_e32 v14, v17, v14
	v_div_scale_f32 v17, vcc, 1.0, v12, 1.0
	v_mul_f32_e32 v18, v17, v14
	v_fma_f32 v19, -v13, v18, v17
	v_fmac_f32_e32 v18, v19, v14
	v_fma_f32 v13, -v13, v18, v17
	v_div_fmas_f32 v13, v13, v14, v18
	v_div_fixup_f32 v17, v13, v12, 1.0
	ds_read2_b64 v[12:15], v22 offset1:8
	ds_read_b64 v[20:21], v7
	ds_read_b64 v[24:25], v6
	ds_read_b64 v[26:27], v1 offset:256
	s_waitcnt lgkmcnt(4)
	v_mul_f32_e32 v18, v11, v5
	v_fmac_f32_e32 v18, v4, v10
	v_mul_f32_e32 v28, v17, v18
	s_waitcnt lgkmcnt(3)
	v_mul_f32_e32 v18, v15, v15
	v_fmac_f32_e32 v18, v14, v14
	v_div_scale_f32 v19, s[0:1], v18, v18, 1.0
	v_rcp_f32_e32 v23, v19
	v_mul_f32_e64 v4, v11, -v4
	v_fmac_f32_e32 v4, v5, v10
	v_mul_f32_e32 v4, v4, v17
	v_fma_f32 v5, -v19, v23, 1.0
	v_fmac_f32_e32 v23, v5, v23
	v_div_scale_f32 v5, vcc, 1.0, v18, 1.0
	v_mul_f32_e32 v10, v5, v23
	v_fma_f32 v11, -v19, v10, v5
	v_fmac_f32_e32 v10, v11, v23
	v_fma_f32 v5, -v19, v10, v5
	v_div_fmas_f32 v5, v5, v23, v10
	v_div_fixup_f32 v5, v5, v18, 1.0
	ds_read2_b64 v[16:19], v16 offset0:16 offset1:32
	s_waitcnt lgkmcnt(3)
	v_mul_f32_e64 v11, v15, -v20
	v_mul_f32_e32 v10, v15, v21
	v_fmac_f32_e32 v11, v21, v14
	v_fmac_f32_e32 v10, v20, v14
	s_waitcnt lgkmcnt(0)
	v_xor_b32_e32 v30, 0x80000000, v17
	v_mov_b32_e32 v31, v16
	v_pk_mul_f32 v[30:31], v[4:5], v[30:31] op_sel_hi:[0,1]
	v_pk_fma_f32 v[16:17], v[16:17], v[28:29], v[30:31] op_sel_hi:[1,0,1]
	v_mul_f32_e32 v14, v11, v5
	ds_read2_b64 v[20:23], v22 offset0:16 offset1:32
	v_pk_add_f32 v[16:17], v[24:25], v[16:17] neg_lo:[0,1] neg_hi:[0,1]
	v_xor_b32_e32 v24, 0x80000000, v13
	v_mov_b32_e32 v25, v12
	v_mul_f32_e32 v10, v5, v10
	v_pk_mul_f32 v[24:25], v[14:15], v[24:25] op_sel_hi:[0,1]
	v_pk_fma_f32 v[12:13], v[12:13], v[10:11], v[24:25] op_sel_hi:[1,0,1]
	v_cmp_gt_u32_e32 vcc, 4, v0
	v_pk_add_f32 v[12:13], v[16:17], v[12:13] neg_lo:[0,1] neg_hi:[0,1]
	v_xor_b32_e32 v16, 0x80000000, v19
	v_mov_b32_e32 v17, v18
	v_pk_mul_f32 v[16:17], v[4:5], v[16:17] op_sel_hi:[0,1]
	v_pk_fma_f32 v[16:17], v[18:19], v[28:29], v[16:17] op_sel_hi:[1,0,1]
	s_waitcnt lgkmcnt(0)
	v_xor_b32_e32 v18, 0x80000000, v23
	v_mov_b32_e32 v19, v22
	v_pk_mul_f32 v[18:19], v[14:15], v[18:19] op_sel_hi:[0,1]
	v_pk_add_f32 v[16:17], v[26:27], v[16:17] neg_lo:[0,1] neg_hi:[0,1]
	v_pk_fma_f32 v[18:19], v[22:23], v[10:11], v[18:19] op_sel_hi:[1,0,1]
	s_nop 0
	v_pk_add_f32 v[16:17], v[16:17], v[18:19] neg_lo:[0,1] neg_hi:[0,1]
	v_pk_add_f32 v[18:19], v[8:9], 0 neg_lo:[1,1] neg_hi:[1,1]
	; wave barrier
	s_nop 0
	v_pk_mov_b32 v[18:19], v[8:9], v[18:19] op_sel:[1,0]
	s_nop 0
	v_pk_mul_f32 v[4:5], v[4:5], v[18:19] op_sel_hi:[0,1]
	v_pk_fma_f32 v[4:5], v[8:9], v[28:29], v[4:5] op_sel_hi:[1,0,1] neg_lo:[1,0,0] neg_hi:[1,0,0]
	v_pk_add_f32 v[8:9], v[20:21], 0 neg_lo:[1,1] neg_hi:[1,1]
	s_nop 0
	v_pk_mov_b32 v[8:9], v[20:21], v[8:9] op_sel:[1,0]
	s_nop 0
	v_pk_mul_f32 v[8:9], v[14:15], v[8:9] op_sel_hi:[0,1]
	v_pk_fma_f32 v[8:9], v[20:21], v[10:11], v[8:9] op_sel_hi:[1,0,1] neg_lo:[1,0,0] neg_hi:[1,0,0]
	ds_write_b64 v6, v[12:13]
	ds_write_b64 v1, v[16:17] offset:256
	ds_write_b64 v1, v[4:5]
	ds_write_b64 v7, v[8:9]
	s_waitcnt lgkmcnt(0)
	; wave barrier
	s_and_saveexec_b64 s[0:1], vcc
	s_cbranch_execz .LBB52_14
; %bb.9:
	v_or_b32_e32 v8, 4, v0
	v_or_b32_e32 v9, 0x100, v1
	v_cmp_le_i32_e32 vcc, s8, v8
                                        ; implicit-def: $vgpr4_vgpr5
	s_and_saveexec_b64 s[6:7], vcc
	s_xor_b64 s[6:7], exec, s[6:7]
	s_cbranch_execz .LBB52_11
; %bb.10:
	ds_read_b64 v[4:5], v6
	ds_read_b64 v[6:7], v9
	s_waitcnt lgkmcnt(1)
	v_mul_f32_e32 v10, v5, v5
	v_fmac_f32_e32 v10, v4, v4
	v_div_scale_f32 v11, s[8:9], v10, v10, 1.0
	v_rcp_f32_e32 v12, v11
	v_div_scale_f32 v13, vcc, 1.0, v10, 1.0
	s_waitcnt lgkmcnt(0)
	v_xor_b32_e32 v9, 0x80000000, v6
	v_fma_f32 v14, -v11, v12, 1.0
	v_fmac_f32_e32 v12, v14, v12
	v_mul_f32_e32 v14, v13, v12
	v_fma_f32 v15, -v11, v14, v13
	v_fmac_f32_e32 v14, v15, v12
	v_mov_b32_e32 v8, v7
	v_fma_f32 v11, -v11, v14, v13
	v_div_fmas_f32 v11, v11, v12, v14
	v_pk_mul_f32 v[8:9], v[4:5], v[8:9] op_sel:[1,0]
	v_div_fixup_f32 v10, v11, v10, 1.0
	v_pk_fma_f32 v[4:5], v[6:7], v[4:5], v[8:9] op_sel_hi:[1,0,1]
                                        ; implicit-def: $vgpr6
                                        ; implicit-def: $vgpr7
                                        ; implicit-def: $vgpr9
                                        ; implicit-def: $vgpr8
	s_nop 0
	v_pk_mul_f32 v[4:5], v[10:11], v[4:5] op_sel_hi:[0,1]
.LBB52_11:
	s_andn2_saveexec_b64 s[6:7], s[6:7]
	s_cbranch_execz .LBB52_13
; %bb.12:
	ds_read2_b64 v[10:13], v6 offset1:4
	ds_read_b64 v[4:5], v7
	ds_read_b32 v0, v9
	ds_read_b64 v[6:7], v9
	ds_read_b64 v[14:15], v1 offset:32
	s_waitcnt lgkmcnt(4)
	v_xor_b32_e32 v16, 0x80000000, v13
	s_waitcnt lgkmcnt(3)
	v_xor_b32_e32 v18, 0x80000000, v5
	v_mov_b32_e32 v17, v12
	v_mov_b32_e32 v19, v4
	v_pk_mul_f32 v[20:21], v[10:11], v[16:17] op_sel:[1,0]
	s_waitcnt lgkmcnt(0)
	v_pk_mul_f32 v[22:23], v[14:15], v[18:19] op_sel:[1,0]
	v_pk_fma_f32 v[20:21], v[12:13], v[10:11], v[20:21] op_sel_hi:[1,0,1]
	v_pk_fma_f32 v[22:23], v[4:5], v[14:15], v[22:23] op_sel_hi:[1,0,1]
	s_nop 0
	v_pk_add_f32 v[20:21], v[20:21], v[22:23] neg_lo:[0,1] neg_hi:[0,1]
	ds_read2_b32 v[22:23], v9 offset0:1 offset1:8
	ds_read_b64 v[24:25], v9 offset:32
	ds_read_b32 v26, v9 offset:36
	v_mul_f32_e32 v27, v21, v21
	v_fmac_f32_e32 v27, v20, v20
	v_div_scale_f32 v28, s[8:9], v27, v27, 1.0
	v_rcp_f32_e32 v29, v28
	s_waitcnt lgkmcnt(2)
	v_pk_mul_f32 v[16:17], v[22:23], v[16:17] op_sel_hi:[0,1]
	v_pk_fma_f32 v[12:13], v[12:13], v[0:1], v[16:17] op_sel_hi:[1,0,1]
	v_mov_b32_e32 v0, v23
	v_fma_f32 v9, -v28, v29, 1.0
	v_fmac_f32_e32 v29, v9, v29
	v_div_scale_f32 v9, vcc, 1.0, v27, 1.0
	v_mul_f32_e32 v30, v9, v29
	v_fma_f32 v31, -v28, v30, v9
	v_fmac_f32_e32 v30, v31, v29
	v_fma_f32 v9, -v28, v30, v9
	v_div_fmas_f32 v9, v9, v29, v30
	v_div_fixup_f32 v9, v9, v27, 1.0
	v_fma_f32 v27, 0, v21, v20
	s_waitcnt lgkmcnt(0)
	v_pk_mul_f32 v[16:17], v[26:27], v[18:19] op_sel_hi:[0,1]
	v_pk_fma_f32 v[4:5], v[4:5], v[0:1], v[16:17] op_sel_hi:[1,0,1]
	v_fma_f32 v20, v20, 0, -v21
	v_pk_add_f32 v[4:5], v[12:13], v[4:5] neg_lo:[0,1] neg_hi:[0,1]
	v_mul_f32_e32 v20, v20, v9
	v_xor_b32_e32 v12, 0x80000000, v5
	v_mov_b32_e32 v13, v4
	v_mul_f32_e32 v28, v27, v9
	v_pk_mul_f32 v[12:13], v[20:21], v[12:13] op_sel_hi:[0,1]
	v_pk_fma_f32 v[4:5], v[4:5], v[28:29], v[12:13] op_sel_hi:[1,0,1]
	ds_write_b64 v1, v[4:5] offset:192
	v_xor_b32_e32 v4, 0x80000000, v25
	v_mov_b32_e32 v5, v24
	v_pk_mul_f32 v[4:5], v[10:11], v[4:5] op_sel:[1,0]
	v_mov_b32_e32 v0, v8
	v_pk_fma_f32 v[4:5], v[24:25], v[10:11], v[4:5] op_sel_hi:[1,0,1]
	v_xor_b32_e32 v10, 0x80000000, v7
	v_mov_b32_e32 v11, v6
	v_pk_mul_f32 v[10:11], v[14:15], v[10:11] op_sel:[1,0]
	s_nop 0
	v_pk_fma_f32 v[6:7], v[6:7], v[14:15], v[10:11] op_sel_hi:[1,0,1]
	s_nop 0
	v_pk_add_f32 v[4:5], v[4:5], v[6:7] neg_lo:[0,1] neg_hi:[0,1]
	s_nop 0
	v_xor_b32_e32 v6, 0x80000000, v5
	v_mov_b32_e32 v7, v4
	v_pk_mul_f32 v[6:7], v[20:21], v[6:7] op_sel_hi:[0,1]
	v_pk_fma_f32 v[4:5], v[4:5], v[28:29], v[6:7] op_sel_hi:[1,0,1]
.LBB52_13:
	s_or_b64 exec, exec, s[6:7]
	v_lshlrev_b32_e32 v0, 3, v0
	ds_write_b64 v0, v[4:5] offset:192
.LBB52_14:
	s_or_b64 exec, exec, s[0:1]
	s_waitcnt lgkmcnt(0)
	; wave barrier
	s_and_saveexec_b64 s[0:1], s[2:3]
	s_cbranch_execz .LBB52_16
; %bb.15:
	ds_read_b64 v[0:1], v1 offset:192
	v_lshl_add_u64 v[2:3], v[2:3], 3, s[4:5]
	s_waitcnt lgkmcnt(0)
	global_store_dwordx2 v[2:3], v[0:1], off
.LBB52_16:
	s_endpgm
	.section	.rodata,"a",@progbits
	.p2align	6, 0x0
	.amdhsa_kernel _ZN9rocsparseL44gtsv_nopivot_strided_batch_pcr_shared_kernelILj8E21rocsparse_complex_numIfEEEviiiPKT0_S5_S5_PS3_
		.amdhsa_group_segment_fixed_size 320
		.amdhsa_private_segment_fixed_size 0
		.amdhsa_kernarg_size 48
		.amdhsa_user_sgpr_count 2
		.amdhsa_user_sgpr_dispatch_ptr 0
		.amdhsa_user_sgpr_queue_ptr 0
		.amdhsa_user_sgpr_kernarg_segment_ptr 1
		.amdhsa_user_sgpr_dispatch_id 0
		.amdhsa_user_sgpr_kernarg_preload_length 0
		.amdhsa_user_sgpr_kernarg_preload_offset 0
		.amdhsa_user_sgpr_private_segment_size 0
		.amdhsa_uses_dynamic_stack 0
		.amdhsa_enable_private_segment 0
		.amdhsa_system_sgpr_workgroup_id_x 1
		.amdhsa_system_sgpr_workgroup_id_y 0
		.amdhsa_system_sgpr_workgroup_id_z 0
		.amdhsa_system_sgpr_workgroup_info 0
		.amdhsa_system_vgpr_workitem_id 0
		.amdhsa_next_free_vgpr 32
		.amdhsa_next_free_sgpr 10
		.amdhsa_accum_offset 32
		.amdhsa_reserve_vcc 1
		.amdhsa_float_round_mode_32 0
		.amdhsa_float_round_mode_16_64 0
		.amdhsa_float_denorm_mode_32 3
		.amdhsa_float_denorm_mode_16_64 3
		.amdhsa_dx10_clamp 1
		.amdhsa_ieee_mode 1
		.amdhsa_fp16_overflow 0
		.amdhsa_tg_split 0
		.amdhsa_exception_fp_ieee_invalid_op 0
		.amdhsa_exception_fp_denorm_src 0
		.amdhsa_exception_fp_ieee_div_zero 0
		.amdhsa_exception_fp_ieee_overflow 0
		.amdhsa_exception_fp_ieee_underflow 0
		.amdhsa_exception_fp_ieee_inexact 0
		.amdhsa_exception_int_div_zero 0
	.end_amdhsa_kernel
	.section	.text._ZN9rocsparseL44gtsv_nopivot_strided_batch_pcr_shared_kernelILj8E21rocsparse_complex_numIfEEEviiiPKT0_S5_S5_PS3_,"axG",@progbits,_ZN9rocsparseL44gtsv_nopivot_strided_batch_pcr_shared_kernelILj8E21rocsparse_complex_numIfEEEviiiPKT0_S5_S5_PS3_,comdat
.Lfunc_end52:
	.size	_ZN9rocsparseL44gtsv_nopivot_strided_batch_pcr_shared_kernelILj8E21rocsparse_complex_numIfEEEviiiPKT0_S5_S5_PS3_, .Lfunc_end52-_ZN9rocsparseL44gtsv_nopivot_strided_batch_pcr_shared_kernelILj8E21rocsparse_complex_numIfEEEviiiPKT0_S5_S5_PS3_
                                        ; -- End function
	.set _ZN9rocsparseL44gtsv_nopivot_strided_batch_pcr_shared_kernelILj8E21rocsparse_complex_numIfEEEviiiPKT0_S5_S5_PS3_.num_vgpr, 32
	.set _ZN9rocsparseL44gtsv_nopivot_strided_batch_pcr_shared_kernelILj8E21rocsparse_complex_numIfEEEviiiPKT0_S5_S5_PS3_.num_agpr, 0
	.set _ZN9rocsparseL44gtsv_nopivot_strided_batch_pcr_shared_kernelILj8E21rocsparse_complex_numIfEEEviiiPKT0_S5_S5_PS3_.numbered_sgpr, 10
	.set _ZN9rocsparseL44gtsv_nopivot_strided_batch_pcr_shared_kernelILj8E21rocsparse_complex_numIfEEEviiiPKT0_S5_S5_PS3_.num_named_barrier, 0
	.set _ZN9rocsparseL44gtsv_nopivot_strided_batch_pcr_shared_kernelILj8E21rocsparse_complex_numIfEEEviiiPKT0_S5_S5_PS3_.private_seg_size, 0
	.set _ZN9rocsparseL44gtsv_nopivot_strided_batch_pcr_shared_kernelILj8E21rocsparse_complex_numIfEEEviiiPKT0_S5_S5_PS3_.uses_vcc, 1
	.set _ZN9rocsparseL44gtsv_nopivot_strided_batch_pcr_shared_kernelILj8E21rocsparse_complex_numIfEEEviiiPKT0_S5_S5_PS3_.uses_flat_scratch, 0
	.set _ZN9rocsparseL44gtsv_nopivot_strided_batch_pcr_shared_kernelILj8E21rocsparse_complex_numIfEEEviiiPKT0_S5_S5_PS3_.has_dyn_sized_stack, 0
	.set _ZN9rocsparseL44gtsv_nopivot_strided_batch_pcr_shared_kernelILj8E21rocsparse_complex_numIfEEEviiiPKT0_S5_S5_PS3_.has_recursion, 0
	.set _ZN9rocsparseL44gtsv_nopivot_strided_batch_pcr_shared_kernelILj8E21rocsparse_complex_numIfEEEviiiPKT0_S5_S5_PS3_.has_indirect_call, 0
	.section	.AMDGPU.csdata,"",@progbits
; Kernel info:
; codeLenInByte = 2192
; TotalNumSgprs: 16
; NumVgprs: 32
; NumAgprs: 0
; TotalNumVgprs: 32
; ScratchSize: 0
; MemoryBound: 0
; FloatMode: 240
; IeeeMode: 1
; LDSByteSize: 320 bytes/workgroup (compile time only)
; SGPRBlocks: 1
; VGPRBlocks: 3
; NumSGPRsForWavesPerEU: 16
; NumVGPRsForWavesPerEU: 32
; AccumOffset: 32
; Occupancy: 8
; WaveLimiterHint : 0
; COMPUTE_PGM_RSRC2:SCRATCH_EN: 0
; COMPUTE_PGM_RSRC2:USER_SGPR: 2
; COMPUTE_PGM_RSRC2:TRAP_HANDLER: 0
; COMPUTE_PGM_RSRC2:TGID_X_EN: 1
; COMPUTE_PGM_RSRC2:TGID_Y_EN: 0
; COMPUTE_PGM_RSRC2:TGID_Z_EN: 0
; COMPUTE_PGM_RSRC2:TIDIG_COMP_CNT: 0
; COMPUTE_PGM_RSRC3_GFX90A:ACCUM_OFFSET: 7
; COMPUTE_PGM_RSRC3_GFX90A:TG_SPLIT: 0
	.section	.text._ZN9rocsparseL44gtsv_nopivot_strided_batch_pcr_shared_kernelILj16E21rocsparse_complex_numIfEEEviiiPKT0_S5_S5_PS3_,"axG",@progbits,_ZN9rocsparseL44gtsv_nopivot_strided_batch_pcr_shared_kernelILj16E21rocsparse_complex_numIfEEEviiiPKT0_S5_S5_PS3_,comdat
	.globl	_ZN9rocsparseL44gtsv_nopivot_strided_batch_pcr_shared_kernelILj16E21rocsparse_complex_numIfEEEviiiPKT0_S5_S5_PS3_ ; -- Begin function _ZN9rocsparseL44gtsv_nopivot_strided_batch_pcr_shared_kernelILj16E21rocsparse_complex_numIfEEEviiiPKT0_S5_S5_PS3_
	.p2align	8
	.type	_ZN9rocsparseL44gtsv_nopivot_strided_batch_pcr_shared_kernelILj16E21rocsparse_complex_numIfEEEviiiPKT0_S5_S5_PS3_,@function
_ZN9rocsparseL44gtsv_nopivot_strided_batch_pcr_shared_kernelILj16E21rocsparse_complex_numIfEEEviiiPKT0_S5_S5_PS3_: ; @_ZN9rocsparseL44gtsv_nopivot_strided_batch_pcr_shared_kernelILj16E21rocsparse_complex_numIfEEEviiiPKT0_S5_S5_PS3_
; %bb.0:
	s_load_dword s3, s[0:1], 0x8
	s_load_dword s8, s[0:1], 0x0
	v_mov_b32_e32 v4, 0
	v_mov_b32_e32 v6, 0
	;; [unrolled: 1-line block ×3, first 2 shown]
	s_waitcnt lgkmcnt(0)
	s_mul_i32 s4, s3, s2
	v_add_u32_e32 v2, s4, v0
	v_cmp_gt_i32_e64 s[2:3], s8, v0
	v_ashrrev_i32_e32 v3, 31, v2
	s_and_saveexec_b64 s[4:5], s[2:3]
	s_cbranch_execz .LBB53_2
; %bb.1:
	s_load_dwordx2 s[6:7], s[0:1], 0x10
	s_waitcnt lgkmcnt(0)
	v_lshl_add_u64 v[6:7], v[2:3], 3, s[6:7]
	global_load_dwordx2 v[6:7], v[6:7], off
.LBB53_2:
	s_or_b64 exec, exec, s[4:5]
	v_lshlrev_b32_e32 v1, 3, v0
	v_mov_b32_e32 v5, 0
	s_waitcnt vmcnt(0)
	ds_write_b64 v1, v[6:7]
	s_and_saveexec_b64 s[4:5], s[2:3]
	s_cbranch_execz .LBB53_4
; %bb.3:
	s_load_dwordx2 s[6:7], s[0:1], 0x18
	s_waitcnt lgkmcnt(0)
	v_lshl_add_u64 v[4:5], v[2:3], 3, s[6:7]
	global_load_dwordx2 v[4:5], v[4:5], off
.LBB53_4:
	s_or_b64 exec, exec, s[4:5]
	s_load_dwordx2 s[4:5], s[0:1], 0x28
	s_waitcnt vmcnt(0)
	ds_write_b64 v1, v[4:5] offset:128
	v_mov_b32_e32 v4, 0
	v_mov_b32_e32 v8, 0
	;; [unrolled: 1-line block ×3, first 2 shown]
	s_and_saveexec_b64 s[6:7], s[2:3]
	s_cbranch_execz .LBB53_6
; %bb.5:
	s_load_dwordx2 s[0:1], s[0:1], 0x20
	s_waitcnt lgkmcnt(0)
	v_lshl_add_u64 v[6:7], v[2:3], 3, s[0:1]
	global_load_dwordx2 v[8:9], v[6:7], off
.LBB53_6:
	s_or_b64 exec, exec, s[6:7]
	v_or_b32_e32 v6, 0x80, v1
	v_or_b32_e32 v7, 0x100, v1
	v_mov_b32_e32 v5, 0
	s_waitcnt vmcnt(0)
	ds_write_b64 v1, v[8:9] offset:256
	s_and_saveexec_b64 s[0:1], s[2:3]
	s_cbranch_execz .LBB53_8
; %bb.7:
	s_waitcnt lgkmcnt(0)
	v_lshl_add_u64 v[4:5], v[2:3], 3, s[4:5]
	global_load_dwordx2 v[4:5], v[4:5], off
.LBB53_8:
	s_or_b64 exec, exec, s[0:1]
	s_waitcnt vmcnt(0)
	ds_write_b64 v1, v[4:5] offset:512
	v_sub_u32_e64 v4, v0, 1 clamp
	v_lshlrev_b32_e32 v16, 3, v4
	s_waitcnt lgkmcnt(0)
	; wave barrier
	ds_read2_b64 v[8:11], v16 offset1:16
	s_add_i32 s0, s8, -1
	v_add_u32_e32 v4, 1, v0
	v_min_i32_e32 v15, s0, v4
	ds_read_b64 v[4:5], v1
	s_waitcnt lgkmcnt(1)
	v_mul_f32_e32 v12, v11, v11
	v_fmac_f32_e32 v12, v10, v10
	v_div_scale_f32 v13, s[6:7], v12, v12, 1.0
	v_rcp_f32_e32 v14, v13
	v_lshlrev_b32_e32 v22, 3, v15
	v_fma_f32 v17, -v13, v14, 1.0
	v_fmac_f32_e32 v14, v17, v14
	v_div_scale_f32 v17, vcc, 1.0, v12, 1.0
	v_mul_f32_e32 v18, v17, v14
	v_fma_f32 v19, -v13, v18, v17
	v_fmac_f32_e32 v18, v19, v14
	v_fma_f32 v13, -v13, v18, v17
	v_div_fmas_f32 v13, v13, v14, v18
	v_div_fixup_f32 v17, v13, v12, 1.0
	ds_read2_b64 v[12:15], v22 offset1:16
	ds_read_b64 v[20:21], v7
	ds_read_b64 v[24:25], v6
	ds_read_b64 v[26:27], v1 offset:512
	s_waitcnt lgkmcnt(4)
	v_mul_f32_e32 v18, v11, v5
	v_fmac_f32_e32 v18, v4, v10
	v_mul_f32_e32 v28, v17, v18
	s_waitcnt lgkmcnt(3)
	v_mul_f32_e32 v18, v15, v15
	v_fmac_f32_e32 v18, v14, v14
	v_div_scale_f32 v19, s[6:7], v18, v18, 1.0
	v_rcp_f32_e32 v23, v19
	v_mul_f32_e64 v4, v11, -v4
	v_fmac_f32_e32 v4, v5, v10
	v_mul_f32_e32 v4, v4, v17
	v_fma_f32 v5, -v19, v23, 1.0
	v_fmac_f32_e32 v23, v5, v23
	v_div_scale_f32 v5, vcc, 1.0, v18, 1.0
	v_mul_f32_e32 v10, v5, v23
	v_fma_f32 v11, -v19, v10, v5
	v_fmac_f32_e32 v10, v11, v23
	v_fma_f32 v5, -v19, v10, v5
	v_div_fmas_f32 v5, v5, v23, v10
	v_div_fixup_f32 v5, v5, v18, 1.0
	ds_read2_b64 v[16:19], v16 offset0:32 offset1:64
	s_waitcnt lgkmcnt(3)
	v_mul_f32_e64 v11, v15, -v20
	v_mul_f32_e32 v10, v15, v21
	v_fmac_f32_e32 v11, v21, v14
	v_fmac_f32_e32 v10, v20, v14
	s_waitcnt lgkmcnt(0)
	v_xor_b32_e32 v30, 0x80000000, v17
	v_mov_b32_e32 v31, v16
	v_pk_mul_f32 v[30:31], v[4:5], v[30:31] op_sel_hi:[0,1]
	v_pk_fma_f32 v[16:17], v[16:17], v[28:29], v[30:31] op_sel_hi:[1,0,1]
	v_mul_f32_e32 v14, v11, v5
	ds_read2_b64 v[20:23], v22 offset0:32 offset1:64
	v_pk_add_f32 v[16:17], v[24:25], v[16:17] neg_lo:[0,1] neg_hi:[0,1]
	v_xor_b32_e32 v24, 0x80000000, v13
	v_mov_b32_e32 v25, v12
	v_mul_f32_e32 v10, v5, v10
	v_pk_mul_f32 v[24:25], v[14:15], v[24:25] op_sel_hi:[0,1]
	v_pk_fma_f32 v[12:13], v[12:13], v[10:11], v[24:25] op_sel_hi:[1,0,1]
	s_waitcnt lgkmcnt(0)
	v_pk_add_f32 v[12:13], v[16:17], v[12:13] neg_lo:[0,1] neg_hi:[0,1]
	v_xor_b32_e32 v16, 0x80000000, v19
	v_mov_b32_e32 v17, v18
	v_pk_mul_f32 v[16:17], v[4:5], v[16:17] op_sel_hi:[0,1]
	v_pk_fma_f32 v[16:17], v[18:19], v[28:29], v[16:17] op_sel_hi:[1,0,1]
	v_xor_b32_e32 v18, 0x80000000, v23
	v_mov_b32_e32 v19, v22
	v_pk_mul_f32 v[18:19], v[14:15], v[18:19] op_sel_hi:[0,1]
	v_pk_add_f32 v[16:17], v[26:27], v[16:17] neg_lo:[0,1] neg_hi:[0,1]
	v_pk_fma_f32 v[18:19], v[22:23], v[10:11], v[18:19] op_sel_hi:[1,0,1]
	; wave barrier
	s_nop 0
	v_pk_add_f32 v[16:17], v[16:17], v[18:19] neg_lo:[0,1] neg_hi:[0,1]
	v_pk_add_f32 v[18:19], v[8:9], 0 neg_lo:[1,1] neg_hi:[1,1]
	s_nop 0
	v_pk_mov_b32 v[18:19], v[8:9], v[18:19] op_sel:[1,0]
	s_nop 0
	v_pk_mul_f32 v[4:5], v[4:5], v[18:19] op_sel_hi:[0,1]
	v_pk_fma_f32 v[4:5], v[8:9], v[28:29], v[4:5] op_sel_hi:[1,0,1] neg_lo:[1,0,0] neg_hi:[1,0,0]
	v_pk_add_f32 v[8:9], v[20:21], 0 neg_lo:[1,1] neg_hi:[1,1]
	s_nop 0
	v_pk_mov_b32 v[8:9], v[20:21], v[8:9] op_sel:[1,0]
	s_nop 0
	v_pk_mul_f32 v[8:9], v[14:15], v[8:9] op_sel_hi:[0,1]
	v_pk_fma_f32 v[8:9], v[20:21], v[10:11], v[8:9] op_sel_hi:[1,0,1] neg_lo:[1,0,0] neg_hi:[1,0,0]
	ds_write_b64 v6, v[12:13]
	ds_write_b64 v1, v[16:17] offset:512
	ds_write_b64 v1, v[4:5]
	ds_write_b64 v7, v[8:9]
	v_sub_u32_e64 v4, v0, 2 clamp
	v_lshlrev_b32_e32 v16, 3, v4
	s_waitcnt lgkmcnt(0)
	; wave barrier
	ds_read2_b64 v[8:11], v16 offset1:16
	v_add_u32_e32 v4, 2, v0
	v_min_i32_e32 v15, s0, v4
	ds_read_b64 v[4:5], v1
	v_lshlrev_b32_e32 v22, 3, v15
	s_waitcnt lgkmcnt(1)
	v_mul_f32_e32 v12, v11, v11
	v_fmac_f32_e32 v12, v10, v10
	v_div_scale_f32 v13, s[6:7], v12, v12, 1.0
	v_rcp_f32_e32 v14, v13
	s_nop 0
	v_fma_f32 v17, -v13, v14, 1.0
	v_fmac_f32_e32 v14, v17, v14
	v_div_scale_f32 v17, vcc, 1.0, v12, 1.0
	v_mul_f32_e32 v18, v17, v14
	v_fma_f32 v19, -v13, v18, v17
	v_fmac_f32_e32 v18, v19, v14
	v_fma_f32 v13, -v13, v18, v17
	v_div_fmas_f32 v13, v13, v14, v18
	v_div_fixup_f32 v17, v13, v12, 1.0
	ds_read2_b64 v[12:15], v22 offset1:16
	ds_read_b64 v[20:21], v7
	ds_read_b64 v[24:25], v6
	ds_read_b64 v[26:27], v1 offset:512
	s_waitcnt lgkmcnt(4)
	v_mul_f32_e32 v18, v11, v5
	v_fmac_f32_e32 v18, v4, v10
	v_mul_f32_e32 v28, v17, v18
	s_waitcnt lgkmcnt(3)
	v_mul_f32_e32 v18, v15, v15
	v_fmac_f32_e32 v18, v14, v14
	v_div_scale_f32 v19, s[6:7], v18, v18, 1.0
	v_rcp_f32_e32 v23, v19
	v_mul_f32_e64 v4, v11, -v4
	v_fmac_f32_e32 v4, v5, v10
	v_mul_f32_e32 v4, v4, v17
	v_fma_f32 v5, -v19, v23, 1.0
	v_fmac_f32_e32 v23, v5, v23
	v_div_scale_f32 v5, vcc, 1.0, v18, 1.0
	v_mul_f32_e32 v10, v5, v23
	v_fma_f32 v11, -v19, v10, v5
	v_fmac_f32_e32 v10, v11, v23
	v_fma_f32 v5, -v19, v10, v5
	v_div_fmas_f32 v5, v5, v23, v10
	v_div_fixup_f32 v5, v5, v18, 1.0
	ds_read2_b64 v[16:19], v16 offset0:32 offset1:64
	s_waitcnt lgkmcnt(3)
	v_mul_f32_e64 v11, v15, -v20
	v_mul_f32_e32 v10, v15, v21
	v_fmac_f32_e32 v11, v21, v14
	v_fmac_f32_e32 v10, v20, v14
	s_waitcnt lgkmcnt(0)
	v_xor_b32_e32 v30, 0x80000000, v17
	v_mov_b32_e32 v31, v16
	v_pk_mul_f32 v[30:31], v[4:5], v[30:31] op_sel_hi:[0,1]
	v_pk_fma_f32 v[16:17], v[16:17], v[28:29], v[30:31] op_sel_hi:[1,0,1]
	v_mul_f32_e32 v14, v11, v5
	ds_read2_b64 v[20:23], v22 offset0:32 offset1:64
	v_pk_add_f32 v[16:17], v[24:25], v[16:17] neg_lo:[0,1] neg_hi:[0,1]
	v_xor_b32_e32 v24, 0x80000000, v13
	v_mov_b32_e32 v25, v12
	v_mul_f32_e32 v10, v5, v10
	v_pk_mul_f32 v[24:25], v[14:15], v[24:25] op_sel_hi:[0,1]
	v_pk_fma_f32 v[12:13], v[12:13], v[10:11], v[24:25] op_sel_hi:[1,0,1]
	s_waitcnt lgkmcnt(0)
	v_pk_add_f32 v[12:13], v[16:17], v[12:13] neg_lo:[0,1] neg_hi:[0,1]
	v_xor_b32_e32 v16, 0x80000000, v19
	v_mov_b32_e32 v17, v18
	v_pk_mul_f32 v[16:17], v[4:5], v[16:17] op_sel_hi:[0,1]
	v_pk_fma_f32 v[16:17], v[18:19], v[28:29], v[16:17] op_sel_hi:[1,0,1]
	v_xor_b32_e32 v18, 0x80000000, v23
	v_mov_b32_e32 v19, v22
	v_pk_mul_f32 v[18:19], v[14:15], v[18:19] op_sel_hi:[0,1]
	v_pk_add_f32 v[16:17], v[26:27], v[16:17] neg_lo:[0,1] neg_hi:[0,1]
	v_pk_fma_f32 v[18:19], v[22:23], v[10:11], v[18:19] op_sel_hi:[1,0,1]
	; wave barrier
	s_nop 0
	v_pk_add_f32 v[16:17], v[16:17], v[18:19] neg_lo:[0,1] neg_hi:[0,1]
	v_pk_add_f32 v[18:19], v[8:9], 0 neg_lo:[1,1] neg_hi:[1,1]
	s_nop 0
	v_pk_mov_b32 v[18:19], v[8:9], v[18:19] op_sel:[1,0]
	s_nop 0
	v_pk_mul_f32 v[4:5], v[4:5], v[18:19] op_sel_hi:[0,1]
	v_pk_fma_f32 v[4:5], v[8:9], v[28:29], v[4:5] op_sel_hi:[1,0,1] neg_lo:[1,0,0] neg_hi:[1,0,0]
	v_pk_add_f32 v[8:9], v[20:21], 0 neg_lo:[1,1] neg_hi:[1,1]
	s_nop 0
	v_pk_mov_b32 v[8:9], v[20:21], v[8:9] op_sel:[1,0]
	s_nop 0
	v_pk_mul_f32 v[8:9], v[14:15], v[8:9] op_sel_hi:[0,1]
	v_pk_fma_f32 v[8:9], v[20:21], v[10:11], v[8:9] op_sel_hi:[1,0,1] neg_lo:[1,0,0] neg_hi:[1,0,0]
	ds_write_b64 v6, v[12:13]
	ds_write_b64 v1, v[16:17] offset:512
	ds_write_b64 v1, v[4:5]
	ds_write_b64 v7, v[8:9]
	v_sub_u32_e64 v4, v0, 4 clamp
	v_lshlrev_b32_e32 v16, 3, v4
	s_waitcnt lgkmcnt(0)
	; wave barrier
	ds_read2_b64 v[8:11], v16 offset1:16
	v_add_u32_e32 v4, 4, v0
	v_min_i32_e32 v15, s0, v4
	ds_read_b64 v[4:5], v1
	v_lshlrev_b32_e32 v22, 3, v15
	s_waitcnt lgkmcnt(1)
	v_mul_f32_e32 v12, v11, v11
	v_fmac_f32_e32 v12, v10, v10
	v_div_scale_f32 v13, s[6:7], v12, v12, 1.0
	v_rcp_f32_e32 v14, v13
	s_nop 0
	v_fma_f32 v17, -v13, v14, 1.0
	v_fmac_f32_e32 v14, v17, v14
	v_div_scale_f32 v17, vcc, 1.0, v12, 1.0
	v_mul_f32_e32 v18, v17, v14
	v_fma_f32 v19, -v13, v18, v17
	v_fmac_f32_e32 v18, v19, v14
	v_fma_f32 v13, -v13, v18, v17
	v_div_fmas_f32 v13, v13, v14, v18
	v_div_fixup_f32 v17, v13, v12, 1.0
	ds_read2_b64 v[12:15], v22 offset1:16
	ds_read_b64 v[20:21], v7
	ds_read_b64 v[24:25], v6
	ds_read_b64 v[26:27], v1 offset:512
	s_waitcnt lgkmcnt(4)
	v_mul_f32_e32 v18, v11, v5
	v_fmac_f32_e32 v18, v4, v10
	v_mul_f32_e32 v28, v17, v18
	s_waitcnt lgkmcnt(3)
	v_mul_f32_e32 v18, v15, v15
	v_fmac_f32_e32 v18, v14, v14
	v_div_scale_f32 v19, s[0:1], v18, v18, 1.0
	v_rcp_f32_e32 v23, v19
	v_mul_f32_e64 v4, v11, -v4
	v_fmac_f32_e32 v4, v5, v10
	v_mul_f32_e32 v4, v4, v17
	v_fma_f32 v5, -v19, v23, 1.0
	v_fmac_f32_e32 v23, v5, v23
	v_div_scale_f32 v5, vcc, 1.0, v18, 1.0
	v_mul_f32_e32 v10, v5, v23
	v_fma_f32 v11, -v19, v10, v5
	v_fmac_f32_e32 v10, v11, v23
	v_fma_f32 v5, -v19, v10, v5
	v_div_fmas_f32 v5, v5, v23, v10
	v_div_fixup_f32 v5, v5, v18, 1.0
	ds_read2_b64 v[16:19], v16 offset0:32 offset1:64
	s_waitcnt lgkmcnt(3)
	v_mul_f32_e64 v11, v15, -v20
	v_mul_f32_e32 v10, v15, v21
	v_fmac_f32_e32 v11, v21, v14
	v_fmac_f32_e32 v10, v20, v14
	s_waitcnt lgkmcnt(0)
	v_xor_b32_e32 v30, 0x80000000, v17
	v_mov_b32_e32 v31, v16
	v_pk_mul_f32 v[30:31], v[4:5], v[30:31] op_sel_hi:[0,1]
	v_pk_fma_f32 v[16:17], v[16:17], v[28:29], v[30:31] op_sel_hi:[1,0,1]
	v_mul_f32_e32 v14, v11, v5
	ds_read2_b64 v[20:23], v22 offset0:32 offset1:64
	v_pk_add_f32 v[16:17], v[24:25], v[16:17] neg_lo:[0,1] neg_hi:[0,1]
	v_xor_b32_e32 v24, 0x80000000, v13
	v_mov_b32_e32 v25, v12
	v_mul_f32_e32 v10, v5, v10
	v_pk_mul_f32 v[24:25], v[14:15], v[24:25] op_sel_hi:[0,1]
	v_pk_fma_f32 v[12:13], v[12:13], v[10:11], v[24:25] op_sel_hi:[1,0,1]
	v_cmp_gt_u32_e32 vcc, 8, v0
	v_pk_add_f32 v[12:13], v[16:17], v[12:13] neg_lo:[0,1] neg_hi:[0,1]
	v_xor_b32_e32 v16, 0x80000000, v19
	v_mov_b32_e32 v17, v18
	v_pk_mul_f32 v[16:17], v[4:5], v[16:17] op_sel_hi:[0,1]
	v_pk_fma_f32 v[16:17], v[18:19], v[28:29], v[16:17] op_sel_hi:[1,0,1]
	s_waitcnt lgkmcnt(0)
	v_xor_b32_e32 v18, 0x80000000, v23
	v_mov_b32_e32 v19, v22
	v_pk_mul_f32 v[18:19], v[14:15], v[18:19] op_sel_hi:[0,1]
	v_pk_add_f32 v[16:17], v[26:27], v[16:17] neg_lo:[0,1] neg_hi:[0,1]
	v_pk_fma_f32 v[18:19], v[22:23], v[10:11], v[18:19] op_sel_hi:[1,0,1]
	s_nop 0
	v_pk_add_f32 v[16:17], v[16:17], v[18:19] neg_lo:[0,1] neg_hi:[0,1]
	v_pk_add_f32 v[18:19], v[8:9], 0 neg_lo:[1,1] neg_hi:[1,1]
	; wave barrier
	s_nop 0
	v_pk_mov_b32 v[18:19], v[8:9], v[18:19] op_sel:[1,0]
	s_nop 0
	v_pk_mul_f32 v[4:5], v[4:5], v[18:19] op_sel_hi:[0,1]
	v_pk_fma_f32 v[4:5], v[8:9], v[28:29], v[4:5] op_sel_hi:[1,0,1] neg_lo:[1,0,0] neg_hi:[1,0,0]
	v_pk_add_f32 v[8:9], v[20:21], 0 neg_lo:[1,1] neg_hi:[1,1]
	s_nop 0
	v_pk_mov_b32 v[8:9], v[20:21], v[8:9] op_sel:[1,0]
	s_nop 0
	v_pk_mul_f32 v[8:9], v[14:15], v[8:9] op_sel_hi:[0,1]
	v_pk_fma_f32 v[8:9], v[20:21], v[10:11], v[8:9] op_sel_hi:[1,0,1] neg_lo:[1,0,0] neg_hi:[1,0,0]
	ds_write_b64 v6, v[12:13]
	ds_write_b64 v1, v[16:17] offset:512
	ds_write_b64 v1, v[4:5]
	ds_write_b64 v7, v[8:9]
	s_waitcnt lgkmcnt(0)
	; wave barrier
	s_and_saveexec_b64 s[0:1], vcc
	s_cbranch_execz .LBB53_14
; %bb.9:
	v_or_b32_e32 v8, 8, v0
	v_or_b32_e32 v9, 0x200, v1
	v_cmp_le_i32_e32 vcc, s8, v8
                                        ; implicit-def: $vgpr4_vgpr5
	s_and_saveexec_b64 s[6:7], vcc
	s_xor_b64 s[6:7], exec, s[6:7]
	s_cbranch_execz .LBB53_11
; %bb.10:
	ds_read_b64 v[4:5], v6
	ds_read_b64 v[6:7], v9
	s_waitcnt lgkmcnt(1)
	v_mul_f32_e32 v10, v5, v5
	v_fmac_f32_e32 v10, v4, v4
	v_div_scale_f32 v11, s[8:9], v10, v10, 1.0
	v_rcp_f32_e32 v12, v11
	v_div_scale_f32 v13, vcc, 1.0, v10, 1.0
	s_waitcnt lgkmcnt(0)
	v_xor_b32_e32 v9, 0x80000000, v6
	v_fma_f32 v14, -v11, v12, 1.0
	v_fmac_f32_e32 v12, v14, v12
	v_mul_f32_e32 v14, v13, v12
	v_fma_f32 v15, -v11, v14, v13
	v_fmac_f32_e32 v14, v15, v12
	v_mov_b32_e32 v8, v7
	v_fma_f32 v11, -v11, v14, v13
	v_div_fmas_f32 v11, v11, v12, v14
	v_pk_mul_f32 v[8:9], v[4:5], v[8:9] op_sel:[1,0]
	v_div_fixup_f32 v10, v11, v10, 1.0
	v_pk_fma_f32 v[4:5], v[6:7], v[4:5], v[8:9] op_sel_hi:[1,0,1]
                                        ; implicit-def: $vgpr6
                                        ; implicit-def: $vgpr7
                                        ; implicit-def: $vgpr9
                                        ; implicit-def: $vgpr8
	s_nop 0
	v_pk_mul_f32 v[4:5], v[10:11], v[4:5] op_sel_hi:[0,1]
.LBB53_11:
	s_andn2_saveexec_b64 s[6:7], s[6:7]
	s_cbranch_execz .LBB53_13
; %bb.12:
	ds_read2_b64 v[10:13], v6 offset1:8
	ds_read_b64 v[4:5], v7
	ds_read_b32 v0, v9
	ds_read_b64 v[6:7], v9
	ds_read_b64 v[14:15], v1 offset:64
	s_waitcnt lgkmcnt(4)
	v_xor_b32_e32 v16, 0x80000000, v13
	s_waitcnt lgkmcnt(3)
	v_xor_b32_e32 v18, 0x80000000, v5
	v_mov_b32_e32 v17, v12
	v_mov_b32_e32 v19, v4
	v_pk_mul_f32 v[20:21], v[10:11], v[16:17] op_sel:[1,0]
	s_waitcnt lgkmcnt(0)
	v_pk_mul_f32 v[22:23], v[14:15], v[18:19] op_sel:[1,0]
	v_pk_fma_f32 v[20:21], v[12:13], v[10:11], v[20:21] op_sel_hi:[1,0,1]
	v_pk_fma_f32 v[22:23], v[4:5], v[14:15], v[22:23] op_sel_hi:[1,0,1]
	s_nop 0
	v_pk_add_f32 v[20:21], v[20:21], v[22:23] neg_lo:[0,1] neg_hi:[0,1]
	ds_read2_b32 v[22:23], v9 offset0:1 offset1:16
	ds_read_b32 v24, v9 offset:68
	v_mul_f32_e32 v25, v21, v21
	v_fmac_f32_e32 v25, v20, v20
	v_div_scale_f32 v26, s[8:9], v25, v25, 1.0
	v_rcp_f32_e32 v27, v26
	s_waitcnt lgkmcnt(1)
	v_pk_mul_f32 v[16:17], v[22:23], v[16:17] op_sel_hi:[0,1]
	v_pk_fma_f32 v[12:13], v[12:13], v[0:1], v[16:17] op_sel_hi:[1,0,1]
	v_mov_b32_e32 v0, v23
	v_fma_f32 v28, -v26, v27, 1.0
	v_fmac_f32_e32 v27, v28, v27
	v_div_scale_f32 v28, vcc, 1.0, v25, 1.0
	v_mul_f32_e32 v29, v28, v27
	v_fma_f32 v30, -v26, v29, v28
	v_fmac_f32_e32 v29, v30, v27
	v_fma_f32 v26, -v26, v29, v28
	v_div_fmas_f32 v26, v26, v27, v29
	v_div_fixup_f32 v25, v26, v25, 1.0
	s_waitcnt lgkmcnt(0)
	v_pk_mul_f32 v[18:19], v[24:25], v[18:19] op_sel_hi:[0,1]
	ds_read_b64 v[16:17], v9 offset:64
	v_pk_fma_f32 v[4:5], v[4:5], v[0:1], v[18:19] op_sel_hi:[1,0,1]
	v_fma_f32 v26, 0, v21, v20
	v_fma_f32 v20, v20, 0, -v21
	v_pk_add_f32 v[4:5], v[12:13], v[4:5] neg_lo:[0,1] neg_hi:[0,1]
	v_mul_f32_e32 v20, v20, v25
	v_xor_b32_e32 v12, 0x80000000, v5
	v_mov_b32_e32 v13, v4
	v_mul_f32_e32 v26, v26, v25
	v_pk_mul_f32 v[12:13], v[20:21], v[12:13] op_sel_hi:[0,1]
	v_pk_fma_f32 v[4:5], v[4:5], v[26:27], v[12:13] op_sel_hi:[1,0,1]
	ds_write_b64 v1, v[4:5] offset:384
	s_waitcnt lgkmcnt(1)
	v_xor_b32_e32 v4, 0x80000000, v17
	v_mov_b32_e32 v5, v16
	v_pk_mul_f32 v[4:5], v[10:11], v[4:5] op_sel:[1,0]
	v_mov_b32_e32 v0, v8
	v_pk_fma_f32 v[4:5], v[16:17], v[10:11], v[4:5] op_sel_hi:[1,0,1]
	v_xor_b32_e32 v10, 0x80000000, v7
	v_mov_b32_e32 v11, v6
	v_pk_mul_f32 v[10:11], v[14:15], v[10:11] op_sel:[1,0]
	s_nop 0
	v_pk_fma_f32 v[6:7], v[6:7], v[14:15], v[10:11] op_sel_hi:[1,0,1]
	s_nop 0
	v_pk_add_f32 v[4:5], v[4:5], v[6:7] neg_lo:[0,1] neg_hi:[0,1]
	s_nop 0
	v_xor_b32_e32 v6, 0x80000000, v5
	v_mov_b32_e32 v7, v4
	v_pk_mul_f32 v[6:7], v[20:21], v[6:7] op_sel_hi:[0,1]
	v_pk_fma_f32 v[4:5], v[4:5], v[26:27], v[6:7] op_sel_hi:[1,0,1]
.LBB53_13:
	s_or_b64 exec, exec, s[6:7]
	v_lshlrev_b32_e32 v0, 3, v0
	ds_write_b64 v0, v[4:5] offset:384
.LBB53_14:
	s_or_b64 exec, exec, s[0:1]
	s_waitcnt lgkmcnt(0)
	; wave barrier
	s_and_saveexec_b64 s[0:1], s[2:3]
	s_cbranch_execz .LBB53_16
; %bb.15:
	ds_read_b64 v[0:1], v1 offset:384
	v_lshl_add_u64 v[2:3], v[2:3], 3, s[4:5]
	s_waitcnt lgkmcnt(0)
	global_store_dwordx2 v[2:3], v[0:1], off
.LBB53_16:
	s_endpgm
	.section	.rodata,"a",@progbits
	.p2align	6, 0x0
	.amdhsa_kernel _ZN9rocsparseL44gtsv_nopivot_strided_batch_pcr_shared_kernelILj16E21rocsparse_complex_numIfEEEviiiPKT0_S5_S5_PS3_
		.amdhsa_group_segment_fixed_size 640
		.amdhsa_private_segment_fixed_size 0
		.amdhsa_kernarg_size 48
		.amdhsa_user_sgpr_count 2
		.amdhsa_user_sgpr_dispatch_ptr 0
		.amdhsa_user_sgpr_queue_ptr 0
		.amdhsa_user_sgpr_kernarg_segment_ptr 1
		.amdhsa_user_sgpr_dispatch_id 0
		.amdhsa_user_sgpr_kernarg_preload_length 0
		.amdhsa_user_sgpr_kernarg_preload_offset 0
		.amdhsa_user_sgpr_private_segment_size 0
		.amdhsa_uses_dynamic_stack 0
		.amdhsa_enable_private_segment 0
		.amdhsa_system_sgpr_workgroup_id_x 1
		.amdhsa_system_sgpr_workgroup_id_y 0
		.amdhsa_system_sgpr_workgroup_id_z 0
		.amdhsa_system_sgpr_workgroup_info 0
		.amdhsa_system_vgpr_workitem_id 0
		.amdhsa_next_free_vgpr 32
		.amdhsa_next_free_sgpr 10
		.amdhsa_accum_offset 32
		.amdhsa_reserve_vcc 1
		.amdhsa_float_round_mode_32 0
		.amdhsa_float_round_mode_16_64 0
		.amdhsa_float_denorm_mode_32 3
		.amdhsa_float_denorm_mode_16_64 3
		.amdhsa_dx10_clamp 1
		.amdhsa_ieee_mode 1
		.amdhsa_fp16_overflow 0
		.amdhsa_tg_split 0
		.amdhsa_exception_fp_ieee_invalid_op 0
		.amdhsa_exception_fp_denorm_src 0
		.amdhsa_exception_fp_ieee_div_zero 0
		.amdhsa_exception_fp_ieee_overflow 0
		.amdhsa_exception_fp_ieee_underflow 0
		.amdhsa_exception_fp_ieee_inexact 0
		.amdhsa_exception_int_div_zero 0
	.end_amdhsa_kernel
	.section	.text._ZN9rocsparseL44gtsv_nopivot_strided_batch_pcr_shared_kernelILj16E21rocsparse_complex_numIfEEEviiiPKT0_S5_S5_PS3_,"axG",@progbits,_ZN9rocsparseL44gtsv_nopivot_strided_batch_pcr_shared_kernelILj16E21rocsparse_complex_numIfEEEviiiPKT0_S5_S5_PS3_,comdat
.Lfunc_end53:
	.size	_ZN9rocsparseL44gtsv_nopivot_strided_batch_pcr_shared_kernelILj16E21rocsparse_complex_numIfEEEviiiPKT0_S5_S5_PS3_, .Lfunc_end53-_ZN9rocsparseL44gtsv_nopivot_strided_batch_pcr_shared_kernelILj16E21rocsparse_complex_numIfEEEviiiPKT0_S5_S5_PS3_
                                        ; -- End function
	.set _ZN9rocsparseL44gtsv_nopivot_strided_batch_pcr_shared_kernelILj16E21rocsparse_complex_numIfEEEviiiPKT0_S5_S5_PS3_.num_vgpr, 32
	.set _ZN9rocsparseL44gtsv_nopivot_strided_batch_pcr_shared_kernelILj16E21rocsparse_complex_numIfEEEviiiPKT0_S5_S5_PS3_.num_agpr, 0
	.set _ZN9rocsparseL44gtsv_nopivot_strided_batch_pcr_shared_kernelILj16E21rocsparse_complex_numIfEEEviiiPKT0_S5_S5_PS3_.numbered_sgpr, 10
	.set _ZN9rocsparseL44gtsv_nopivot_strided_batch_pcr_shared_kernelILj16E21rocsparse_complex_numIfEEEviiiPKT0_S5_S5_PS3_.num_named_barrier, 0
	.set _ZN9rocsparseL44gtsv_nopivot_strided_batch_pcr_shared_kernelILj16E21rocsparse_complex_numIfEEEviiiPKT0_S5_S5_PS3_.private_seg_size, 0
	.set _ZN9rocsparseL44gtsv_nopivot_strided_batch_pcr_shared_kernelILj16E21rocsparse_complex_numIfEEEviiiPKT0_S5_S5_PS3_.uses_vcc, 1
	.set _ZN9rocsparseL44gtsv_nopivot_strided_batch_pcr_shared_kernelILj16E21rocsparse_complex_numIfEEEviiiPKT0_S5_S5_PS3_.uses_flat_scratch, 0
	.set _ZN9rocsparseL44gtsv_nopivot_strided_batch_pcr_shared_kernelILj16E21rocsparse_complex_numIfEEEviiiPKT0_S5_S5_PS3_.has_dyn_sized_stack, 0
	.set _ZN9rocsparseL44gtsv_nopivot_strided_batch_pcr_shared_kernelILj16E21rocsparse_complex_numIfEEEviiiPKT0_S5_S5_PS3_.has_recursion, 0
	.set _ZN9rocsparseL44gtsv_nopivot_strided_batch_pcr_shared_kernelILj16E21rocsparse_complex_numIfEEEviiiPKT0_S5_S5_PS3_.has_indirect_call, 0
	.section	.AMDGPU.csdata,"",@progbits
; Kernel info:
; codeLenInByte = 2796
; TotalNumSgprs: 16
; NumVgprs: 32
; NumAgprs: 0
; TotalNumVgprs: 32
; ScratchSize: 0
; MemoryBound: 0
; FloatMode: 240
; IeeeMode: 1
; LDSByteSize: 640 bytes/workgroup (compile time only)
; SGPRBlocks: 1
; VGPRBlocks: 3
; NumSGPRsForWavesPerEU: 16
; NumVGPRsForWavesPerEU: 32
; AccumOffset: 32
; Occupancy: 8
; WaveLimiterHint : 0
; COMPUTE_PGM_RSRC2:SCRATCH_EN: 0
; COMPUTE_PGM_RSRC2:USER_SGPR: 2
; COMPUTE_PGM_RSRC2:TRAP_HANDLER: 0
; COMPUTE_PGM_RSRC2:TGID_X_EN: 1
; COMPUTE_PGM_RSRC2:TGID_Y_EN: 0
; COMPUTE_PGM_RSRC2:TGID_Z_EN: 0
; COMPUTE_PGM_RSRC2:TIDIG_COMP_CNT: 0
; COMPUTE_PGM_RSRC3_GFX90A:ACCUM_OFFSET: 7
; COMPUTE_PGM_RSRC3_GFX90A:TG_SPLIT: 0
	.section	.text._ZN9rocsparseL44gtsv_nopivot_strided_batch_pcr_shared_kernelILj32E21rocsparse_complex_numIfEEEviiiPKT0_S5_S5_PS3_,"axG",@progbits,_ZN9rocsparseL44gtsv_nopivot_strided_batch_pcr_shared_kernelILj32E21rocsparse_complex_numIfEEEviiiPKT0_S5_S5_PS3_,comdat
	.globl	_ZN9rocsparseL44gtsv_nopivot_strided_batch_pcr_shared_kernelILj32E21rocsparse_complex_numIfEEEviiiPKT0_S5_S5_PS3_ ; -- Begin function _ZN9rocsparseL44gtsv_nopivot_strided_batch_pcr_shared_kernelILj32E21rocsparse_complex_numIfEEEviiiPKT0_S5_S5_PS3_
	.p2align	8
	.type	_ZN9rocsparseL44gtsv_nopivot_strided_batch_pcr_shared_kernelILj32E21rocsparse_complex_numIfEEEviiiPKT0_S5_S5_PS3_,@function
_ZN9rocsparseL44gtsv_nopivot_strided_batch_pcr_shared_kernelILj32E21rocsparse_complex_numIfEEEviiiPKT0_S5_S5_PS3_: ; @_ZN9rocsparseL44gtsv_nopivot_strided_batch_pcr_shared_kernelILj32E21rocsparse_complex_numIfEEEviiiPKT0_S5_S5_PS3_
; %bb.0:
	s_load_dword s3, s[0:1], 0x8
	s_load_dword s8, s[0:1], 0x0
	v_mov_b32_e32 v4, 0
	v_mov_b32_e32 v6, 0
	;; [unrolled: 1-line block ×3, first 2 shown]
	s_waitcnt lgkmcnt(0)
	s_mul_i32 s4, s3, s2
	v_add_u32_e32 v2, s4, v0
	v_cmp_gt_i32_e64 s[2:3], s8, v0
	v_ashrrev_i32_e32 v3, 31, v2
	s_and_saveexec_b64 s[4:5], s[2:3]
	s_cbranch_execz .LBB54_2
; %bb.1:
	s_load_dwordx2 s[6:7], s[0:1], 0x10
	s_waitcnt lgkmcnt(0)
	v_lshl_add_u64 v[6:7], v[2:3], 3, s[6:7]
	global_load_dwordx2 v[6:7], v[6:7], off
.LBB54_2:
	s_or_b64 exec, exec, s[4:5]
	v_lshlrev_b32_e32 v1, 3, v0
	v_mov_b32_e32 v5, 0
	s_waitcnt vmcnt(0)
	ds_write_b64 v1, v[6:7]
	s_and_saveexec_b64 s[4:5], s[2:3]
	s_cbranch_execz .LBB54_4
; %bb.3:
	s_load_dwordx2 s[6:7], s[0:1], 0x18
	s_waitcnt lgkmcnt(0)
	v_lshl_add_u64 v[4:5], v[2:3], 3, s[6:7]
	global_load_dwordx2 v[4:5], v[4:5], off
.LBB54_4:
	s_or_b64 exec, exec, s[4:5]
	s_load_dwordx2 s[4:5], s[0:1], 0x28
	s_waitcnt vmcnt(0)
	ds_write_b64 v1, v[4:5] offset:256
	v_mov_b32_e32 v4, 0
	v_mov_b32_e32 v8, 0
	;; [unrolled: 1-line block ×3, first 2 shown]
	s_and_saveexec_b64 s[6:7], s[2:3]
	s_cbranch_execz .LBB54_6
; %bb.5:
	s_load_dwordx2 s[0:1], s[0:1], 0x20
	s_waitcnt lgkmcnt(0)
	v_lshl_add_u64 v[6:7], v[2:3], 3, s[0:1]
	global_load_dwordx2 v[8:9], v[6:7], off
.LBB54_6:
	s_or_b64 exec, exec, s[6:7]
	v_or_b32_e32 v6, 0x100, v1
	v_or_b32_e32 v7, 0x200, v1
	v_mov_b32_e32 v5, 0
	s_waitcnt vmcnt(0)
	ds_write_b64 v1, v[8:9] offset:512
	s_and_saveexec_b64 s[0:1], s[2:3]
	s_cbranch_execz .LBB54_8
; %bb.7:
	s_waitcnt lgkmcnt(0)
	v_lshl_add_u64 v[4:5], v[2:3], 3, s[4:5]
	global_load_dwordx2 v[4:5], v[4:5], off
.LBB54_8:
	s_or_b64 exec, exec, s[0:1]
	s_waitcnt vmcnt(0)
	ds_write_b64 v1, v[4:5] offset:1024
	v_sub_u32_e64 v4, v0, 1 clamp
	v_lshlrev_b32_e32 v16, 3, v4
	s_waitcnt lgkmcnt(0)
	; wave barrier
	ds_read2_b64 v[8:11], v16 offset1:32
	s_add_i32 s0, s8, -1
	v_add_u32_e32 v4, 1, v0
	v_min_i32_e32 v15, s0, v4
	ds_read_b64 v[4:5], v1
	s_waitcnt lgkmcnt(1)
	v_mul_f32_e32 v12, v11, v11
	v_fmac_f32_e32 v12, v10, v10
	v_div_scale_f32 v13, s[6:7], v12, v12, 1.0
	v_rcp_f32_e32 v14, v13
	v_lshlrev_b32_e32 v20, 3, v15
	v_fma_f32 v17, -v13, v14, 1.0
	v_fmac_f32_e32 v14, v17, v14
	v_div_scale_f32 v17, vcc, 1.0, v12, 1.0
	v_mul_f32_e32 v18, v17, v14
	v_fma_f32 v19, -v13, v18, v17
	v_fmac_f32_e32 v18, v19, v14
	v_fma_f32 v13, -v13, v18, v17
	v_div_fmas_f32 v13, v13, v14, v18
	v_div_fixup_f32 v17, v13, v12, 1.0
	ds_read2_b64 v[12:15], v20 offset1:32
	ds_read_b64 v[24:25], v1 offset:1024
	s_waitcnt lgkmcnt(2)
	v_mul_f32_e32 v18, v11, v5
	v_fmac_f32_e32 v18, v4, v10
	v_mul_f32_e32 v26, v17, v18
	s_waitcnt lgkmcnt(1)
	v_mul_f32_e32 v18, v15, v15
	v_fmac_f32_e32 v18, v14, v14
	v_div_scale_f32 v19, s[6:7], v18, v18, 1.0
	v_rcp_f32_e32 v21, v19
	v_mul_f32_e64 v4, v11, -v4
	v_fmac_f32_e32 v4, v5, v10
	ds_read_b64 v[10:11], v7
	ds_read_b64 v[28:29], v6
	v_fma_f32 v5, -v19, v21, 1.0
	v_fmac_f32_e32 v21, v5, v21
	v_div_scale_f32 v5, vcc, 1.0, v18, 1.0
	v_mul_f32_e32 v4, v4, v17
	v_mul_f32_e32 v17, v5, v21
	v_fma_f32 v22, -v19, v17, v5
	v_fmac_f32_e32 v17, v22, v21
	v_fma_f32 v5, -v19, v17, v5
	v_div_fmas_f32 v5, v5, v21, v17
	s_waitcnt lgkmcnt(1)
	v_mul_f32_e32 v17, v15, v11
	v_div_fixup_f32 v5, v5, v18, 1.0
	v_fmac_f32_e32 v17, v10, v14
	v_mul_f32_e32 v30, v5, v17
	ds_read2st64_b64 v[16:19], v16 offset0:1 offset1:2
	v_mul_f32_e64 v10, v15, -v10
	v_fmac_f32_e32 v10, v11, v14
	ds_read2st64_b64 v[20:23], v20 offset0:1 offset1:2
	v_mul_f32_e32 v10, v10, v5
	s_waitcnt lgkmcnt(1)
	v_xor_b32_e32 v14, 0x80000000, v17
	v_mov_b32_e32 v15, v16
	v_pk_mul_f32 v[14:15], v[4:5], v[14:15] op_sel_hi:[0,1]
	v_pk_fma_f32 v[14:15], v[16:17], v[26:27], v[14:15] op_sel_hi:[1,0,1]
	v_xor_b32_e32 v16, 0x80000000, v13
	v_mov_b32_e32 v17, v12
	v_pk_mul_f32 v[16:17], v[10:11], v[16:17] op_sel_hi:[0,1]
	v_pk_add_f32 v[14:15], v[28:29], v[14:15] neg_lo:[0,1] neg_hi:[0,1]
	v_pk_fma_f32 v[12:13], v[12:13], v[30:31], v[16:17] op_sel_hi:[1,0,1]
	s_waitcnt lgkmcnt(0)
	v_xor_b32_e32 v16, 0x80000000, v23
	v_pk_add_f32 v[12:13], v[14:15], v[12:13] neg_lo:[0,1] neg_hi:[0,1]
	v_xor_b32_e32 v14, 0x80000000, v19
	v_mov_b32_e32 v15, v18
	v_pk_mul_f32 v[14:15], v[4:5], v[14:15] op_sel_hi:[0,1]
	v_mov_b32_e32 v17, v22
	v_pk_fma_f32 v[14:15], v[18:19], v[26:27], v[14:15] op_sel_hi:[1,0,1]
	v_pk_mul_f32 v[16:17], v[10:11], v[16:17] op_sel_hi:[0,1]
	v_pk_add_f32 v[14:15], v[24:25], v[14:15] neg_lo:[0,1] neg_hi:[0,1]
	v_pk_fma_f32 v[16:17], v[22:23], v[30:31], v[16:17] op_sel_hi:[1,0,1]
	s_nop 0
	v_pk_add_f32 v[14:15], v[14:15], v[16:17] neg_lo:[0,1] neg_hi:[0,1]
	v_pk_add_f32 v[16:17], v[8:9], 0 neg_lo:[1,1] neg_hi:[1,1]
	; wave barrier
	s_nop 0
	v_pk_mov_b32 v[16:17], v[8:9], v[16:17] op_sel:[1,0]
	s_nop 0
	v_pk_mul_f32 v[4:5], v[4:5], v[16:17] op_sel_hi:[0,1]
	v_pk_fma_f32 v[4:5], v[8:9], v[26:27], v[4:5] op_sel_hi:[1,0,1] neg_lo:[1,0,0] neg_hi:[1,0,0]
	v_pk_add_f32 v[8:9], v[20:21], 0 neg_lo:[1,1] neg_hi:[1,1]
	s_nop 0
	v_pk_mov_b32 v[8:9], v[20:21], v[8:9] op_sel:[1,0]
	s_nop 0
	v_pk_mul_f32 v[8:9], v[10:11], v[8:9] op_sel_hi:[0,1]
	v_pk_fma_f32 v[8:9], v[20:21], v[30:31], v[8:9] op_sel_hi:[1,0,1] neg_lo:[1,0,0] neg_hi:[1,0,0]
	ds_write_b64 v6, v[12:13]
	ds_write_b64 v1, v[14:15] offset:1024
	ds_write_b64 v1, v[4:5]
	ds_write_b64 v7, v[8:9]
	v_sub_u32_e64 v4, v0, 2 clamp
	v_lshlrev_b32_e32 v16, 3, v4
	s_waitcnt lgkmcnt(0)
	; wave barrier
	ds_read2_b64 v[8:11], v16 offset1:32
	v_add_u32_e32 v4, 2, v0
	v_min_i32_e32 v15, s0, v4
	ds_read_b64 v[4:5], v1
	v_lshlrev_b32_e32 v20, 3, v15
	s_waitcnt lgkmcnt(1)
	v_mul_f32_e32 v12, v11, v11
	v_fmac_f32_e32 v12, v10, v10
	v_div_scale_f32 v13, s[6:7], v12, v12, 1.0
	v_rcp_f32_e32 v14, v13
	s_nop 0
	v_fma_f32 v17, -v13, v14, 1.0
	v_fmac_f32_e32 v14, v17, v14
	v_div_scale_f32 v17, vcc, 1.0, v12, 1.0
	v_mul_f32_e32 v18, v17, v14
	v_fma_f32 v19, -v13, v18, v17
	v_fmac_f32_e32 v18, v19, v14
	v_fma_f32 v13, -v13, v18, v17
	v_div_fmas_f32 v13, v13, v14, v18
	v_div_fixup_f32 v17, v13, v12, 1.0
	ds_read2_b64 v[12:15], v20 offset1:32
	ds_read_b64 v[24:25], v1 offset:1024
	s_waitcnt lgkmcnt(2)
	v_mul_f32_e32 v18, v11, v5
	v_fmac_f32_e32 v18, v4, v10
	v_mul_f32_e32 v26, v17, v18
	s_waitcnt lgkmcnt(1)
	v_mul_f32_e32 v18, v15, v15
	v_fmac_f32_e32 v18, v14, v14
	v_div_scale_f32 v19, s[6:7], v18, v18, 1.0
	v_rcp_f32_e32 v21, v19
	v_mul_f32_e64 v4, v11, -v4
	v_fmac_f32_e32 v4, v5, v10
	ds_read_b64 v[10:11], v7
	ds_read_b64 v[28:29], v6
	v_fma_f32 v5, -v19, v21, 1.0
	v_fmac_f32_e32 v21, v5, v21
	v_div_scale_f32 v5, vcc, 1.0, v18, 1.0
	v_mul_f32_e32 v4, v4, v17
	v_mul_f32_e32 v17, v5, v21
	v_fma_f32 v22, -v19, v17, v5
	v_fmac_f32_e32 v17, v22, v21
	v_fma_f32 v5, -v19, v17, v5
	v_div_fmas_f32 v5, v5, v21, v17
	s_waitcnt lgkmcnt(1)
	v_mul_f32_e32 v17, v15, v11
	v_div_fixup_f32 v5, v5, v18, 1.0
	v_fmac_f32_e32 v17, v10, v14
	v_mul_f32_e32 v30, v5, v17
	ds_read2st64_b64 v[16:19], v16 offset0:1 offset1:2
	v_mul_f32_e64 v10, v15, -v10
	v_fmac_f32_e32 v10, v11, v14
	ds_read2st64_b64 v[20:23], v20 offset0:1 offset1:2
	v_mul_f32_e32 v10, v10, v5
	s_waitcnt lgkmcnt(1)
	v_xor_b32_e32 v14, 0x80000000, v17
	v_mov_b32_e32 v15, v16
	v_pk_mul_f32 v[14:15], v[4:5], v[14:15] op_sel_hi:[0,1]
	v_pk_fma_f32 v[14:15], v[16:17], v[26:27], v[14:15] op_sel_hi:[1,0,1]
	v_xor_b32_e32 v16, 0x80000000, v13
	v_mov_b32_e32 v17, v12
	v_pk_mul_f32 v[16:17], v[10:11], v[16:17] op_sel_hi:[0,1]
	v_pk_add_f32 v[14:15], v[28:29], v[14:15] neg_lo:[0,1] neg_hi:[0,1]
	v_pk_fma_f32 v[12:13], v[12:13], v[30:31], v[16:17] op_sel_hi:[1,0,1]
	s_waitcnt lgkmcnt(0)
	v_xor_b32_e32 v16, 0x80000000, v23
	v_pk_add_f32 v[12:13], v[14:15], v[12:13] neg_lo:[0,1] neg_hi:[0,1]
	v_xor_b32_e32 v14, 0x80000000, v19
	v_mov_b32_e32 v15, v18
	v_pk_mul_f32 v[14:15], v[4:5], v[14:15] op_sel_hi:[0,1]
	v_mov_b32_e32 v17, v22
	v_pk_fma_f32 v[14:15], v[18:19], v[26:27], v[14:15] op_sel_hi:[1,0,1]
	v_pk_mul_f32 v[16:17], v[10:11], v[16:17] op_sel_hi:[0,1]
	v_pk_add_f32 v[14:15], v[24:25], v[14:15] neg_lo:[0,1] neg_hi:[0,1]
	v_pk_fma_f32 v[16:17], v[22:23], v[30:31], v[16:17] op_sel_hi:[1,0,1]
	s_nop 0
	v_pk_add_f32 v[14:15], v[14:15], v[16:17] neg_lo:[0,1] neg_hi:[0,1]
	v_pk_add_f32 v[16:17], v[8:9], 0 neg_lo:[1,1] neg_hi:[1,1]
	; wave barrier
	s_nop 0
	v_pk_mov_b32 v[16:17], v[8:9], v[16:17] op_sel:[1,0]
	s_nop 0
	v_pk_mul_f32 v[4:5], v[4:5], v[16:17] op_sel_hi:[0,1]
	v_pk_fma_f32 v[4:5], v[8:9], v[26:27], v[4:5] op_sel_hi:[1,0,1] neg_lo:[1,0,0] neg_hi:[1,0,0]
	v_pk_add_f32 v[8:9], v[20:21], 0 neg_lo:[1,1] neg_hi:[1,1]
	s_nop 0
	v_pk_mov_b32 v[8:9], v[20:21], v[8:9] op_sel:[1,0]
	s_nop 0
	v_pk_mul_f32 v[8:9], v[10:11], v[8:9] op_sel_hi:[0,1]
	v_pk_fma_f32 v[8:9], v[20:21], v[30:31], v[8:9] op_sel_hi:[1,0,1] neg_lo:[1,0,0] neg_hi:[1,0,0]
	ds_write_b64 v6, v[12:13]
	ds_write_b64 v1, v[14:15] offset:1024
	ds_write_b64 v1, v[4:5]
	ds_write_b64 v7, v[8:9]
	v_sub_u32_e64 v4, v0, 4 clamp
	v_lshlrev_b32_e32 v16, 3, v4
	s_waitcnt lgkmcnt(0)
	; wave barrier
	ds_read2_b64 v[8:11], v16 offset1:32
	v_add_u32_e32 v4, 4, v0
	v_min_i32_e32 v15, s0, v4
	ds_read_b64 v[4:5], v1
	v_lshlrev_b32_e32 v20, 3, v15
	s_waitcnt lgkmcnt(1)
	v_mul_f32_e32 v12, v11, v11
	v_fmac_f32_e32 v12, v10, v10
	v_div_scale_f32 v13, s[6:7], v12, v12, 1.0
	v_rcp_f32_e32 v14, v13
	s_nop 0
	v_fma_f32 v17, -v13, v14, 1.0
	v_fmac_f32_e32 v14, v17, v14
	v_div_scale_f32 v17, vcc, 1.0, v12, 1.0
	v_mul_f32_e32 v18, v17, v14
	v_fma_f32 v19, -v13, v18, v17
	v_fmac_f32_e32 v18, v19, v14
	v_fma_f32 v13, -v13, v18, v17
	v_div_fmas_f32 v13, v13, v14, v18
	v_div_fixup_f32 v17, v13, v12, 1.0
	ds_read2_b64 v[12:15], v20 offset1:32
	ds_read_b64 v[24:25], v1 offset:1024
	s_waitcnt lgkmcnt(2)
	v_mul_f32_e32 v18, v11, v5
	v_fmac_f32_e32 v18, v4, v10
	v_mul_f32_e32 v26, v17, v18
	s_waitcnt lgkmcnt(1)
	v_mul_f32_e32 v18, v15, v15
	v_fmac_f32_e32 v18, v14, v14
	v_div_scale_f32 v19, s[6:7], v18, v18, 1.0
	v_rcp_f32_e32 v21, v19
	v_mul_f32_e64 v4, v11, -v4
	v_fmac_f32_e32 v4, v5, v10
	ds_read_b64 v[10:11], v7
	ds_read_b64 v[28:29], v6
	v_fma_f32 v5, -v19, v21, 1.0
	v_fmac_f32_e32 v21, v5, v21
	v_div_scale_f32 v5, vcc, 1.0, v18, 1.0
	v_mul_f32_e32 v4, v4, v17
	v_mul_f32_e32 v17, v5, v21
	v_fma_f32 v22, -v19, v17, v5
	v_fmac_f32_e32 v17, v22, v21
	v_fma_f32 v5, -v19, v17, v5
	v_div_fmas_f32 v5, v5, v21, v17
	s_waitcnt lgkmcnt(1)
	v_mul_f32_e32 v17, v15, v11
	v_div_fixup_f32 v5, v5, v18, 1.0
	v_fmac_f32_e32 v17, v10, v14
	v_mul_f32_e32 v30, v5, v17
	ds_read2st64_b64 v[16:19], v16 offset0:1 offset1:2
	v_mul_f32_e64 v10, v15, -v10
	v_fmac_f32_e32 v10, v11, v14
	ds_read2st64_b64 v[20:23], v20 offset0:1 offset1:2
	v_mul_f32_e32 v10, v10, v5
	s_waitcnt lgkmcnt(1)
	v_xor_b32_e32 v14, 0x80000000, v17
	v_mov_b32_e32 v15, v16
	v_pk_mul_f32 v[14:15], v[4:5], v[14:15] op_sel_hi:[0,1]
	v_pk_fma_f32 v[14:15], v[16:17], v[26:27], v[14:15] op_sel_hi:[1,0,1]
	v_xor_b32_e32 v16, 0x80000000, v13
	v_mov_b32_e32 v17, v12
	v_pk_mul_f32 v[16:17], v[10:11], v[16:17] op_sel_hi:[0,1]
	v_pk_add_f32 v[14:15], v[28:29], v[14:15] neg_lo:[0,1] neg_hi:[0,1]
	v_pk_fma_f32 v[12:13], v[12:13], v[30:31], v[16:17] op_sel_hi:[1,0,1]
	s_waitcnt lgkmcnt(0)
	v_xor_b32_e32 v16, 0x80000000, v23
	v_pk_add_f32 v[12:13], v[14:15], v[12:13] neg_lo:[0,1] neg_hi:[0,1]
	v_xor_b32_e32 v14, 0x80000000, v19
	v_mov_b32_e32 v15, v18
	v_pk_mul_f32 v[14:15], v[4:5], v[14:15] op_sel_hi:[0,1]
	v_mov_b32_e32 v17, v22
	v_pk_fma_f32 v[14:15], v[18:19], v[26:27], v[14:15] op_sel_hi:[1,0,1]
	v_pk_mul_f32 v[16:17], v[10:11], v[16:17] op_sel_hi:[0,1]
	v_pk_add_f32 v[14:15], v[24:25], v[14:15] neg_lo:[0,1] neg_hi:[0,1]
	v_pk_fma_f32 v[16:17], v[22:23], v[30:31], v[16:17] op_sel_hi:[1,0,1]
	s_nop 0
	v_pk_add_f32 v[14:15], v[14:15], v[16:17] neg_lo:[0,1] neg_hi:[0,1]
	v_pk_add_f32 v[16:17], v[8:9], 0 neg_lo:[1,1] neg_hi:[1,1]
	; wave barrier
	s_nop 0
	v_pk_mov_b32 v[16:17], v[8:9], v[16:17] op_sel:[1,0]
	s_nop 0
	v_pk_mul_f32 v[4:5], v[4:5], v[16:17] op_sel_hi:[0,1]
	v_pk_fma_f32 v[4:5], v[8:9], v[26:27], v[4:5] op_sel_hi:[1,0,1] neg_lo:[1,0,0] neg_hi:[1,0,0]
	v_pk_add_f32 v[8:9], v[20:21], 0 neg_lo:[1,1] neg_hi:[1,1]
	s_nop 0
	v_pk_mov_b32 v[8:9], v[20:21], v[8:9] op_sel:[1,0]
	s_nop 0
	v_pk_mul_f32 v[8:9], v[10:11], v[8:9] op_sel_hi:[0,1]
	v_pk_fma_f32 v[8:9], v[20:21], v[30:31], v[8:9] op_sel_hi:[1,0,1] neg_lo:[1,0,0] neg_hi:[1,0,0]
	ds_write_b64 v6, v[12:13]
	ds_write_b64 v1, v[14:15] offset:1024
	ds_write_b64 v1, v[4:5]
	ds_write_b64 v7, v[8:9]
	v_sub_u32_e64 v4, v0, 8 clamp
	v_lshlrev_b32_e32 v16, 3, v4
	s_waitcnt lgkmcnt(0)
	; wave barrier
	ds_read2_b64 v[8:11], v16 offset1:32
	v_add_u32_e32 v4, 8, v0
	v_min_i32_e32 v15, s0, v4
	ds_read_b64 v[4:5], v1
	v_lshlrev_b32_e32 v20, 3, v15
	s_waitcnt lgkmcnt(1)
	v_mul_f32_e32 v12, v11, v11
	v_fmac_f32_e32 v12, v10, v10
	v_div_scale_f32 v13, s[6:7], v12, v12, 1.0
	v_rcp_f32_e32 v14, v13
	s_nop 0
	v_fma_f32 v17, -v13, v14, 1.0
	v_fmac_f32_e32 v14, v17, v14
	v_div_scale_f32 v17, vcc, 1.0, v12, 1.0
	v_mul_f32_e32 v18, v17, v14
	v_fma_f32 v19, -v13, v18, v17
	v_fmac_f32_e32 v18, v19, v14
	v_fma_f32 v13, -v13, v18, v17
	v_div_fmas_f32 v13, v13, v14, v18
	v_div_fixup_f32 v17, v13, v12, 1.0
	ds_read2_b64 v[12:15], v20 offset1:32
	ds_read_b64 v[24:25], v1 offset:1024
	s_waitcnt lgkmcnt(2)
	v_mul_f32_e32 v18, v11, v5
	v_fmac_f32_e32 v18, v4, v10
	v_mul_f32_e32 v26, v17, v18
	s_waitcnt lgkmcnt(1)
	v_mul_f32_e32 v18, v15, v15
	v_fmac_f32_e32 v18, v14, v14
	v_div_scale_f32 v19, s[0:1], v18, v18, 1.0
	v_rcp_f32_e32 v21, v19
	v_mul_f32_e64 v4, v11, -v4
	v_fmac_f32_e32 v4, v5, v10
	ds_read_b64 v[10:11], v7
	ds_read_b64 v[28:29], v6
	v_fma_f32 v5, -v19, v21, 1.0
	v_fmac_f32_e32 v21, v5, v21
	v_div_scale_f32 v5, vcc, 1.0, v18, 1.0
	v_mul_f32_e32 v4, v4, v17
	v_mul_f32_e32 v17, v5, v21
	v_fma_f32 v22, -v19, v17, v5
	v_fmac_f32_e32 v17, v22, v21
	v_fma_f32 v5, -v19, v17, v5
	v_div_fmas_f32 v5, v5, v21, v17
	s_waitcnt lgkmcnt(1)
	v_mul_f32_e32 v17, v15, v11
	v_div_fixup_f32 v5, v5, v18, 1.0
	v_fmac_f32_e32 v17, v10, v14
	v_mul_f32_e32 v30, v5, v17
	ds_read2st64_b64 v[16:19], v16 offset0:1 offset1:2
	v_mul_f32_e64 v10, v15, -v10
	v_fmac_f32_e32 v10, v11, v14
	ds_read2st64_b64 v[20:23], v20 offset0:1 offset1:2
	v_mul_f32_e32 v10, v10, v5
	s_waitcnt lgkmcnt(1)
	v_xor_b32_e32 v14, 0x80000000, v17
	v_mov_b32_e32 v15, v16
	v_pk_mul_f32 v[14:15], v[4:5], v[14:15] op_sel_hi:[0,1]
	v_pk_fma_f32 v[14:15], v[16:17], v[26:27], v[14:15] op_sel_hi:[1,0,1]
	v_xor_b32_e32 v16, 0x80000000, v13
	v_mov_b32_e32 v17, v12
	v_pk_mul_f32 v[16:17], v[10:11], v[16:17] op_sel_hi:[0,1]
	v_pk_add_f32 v[14:15], v[28:29], v[14:15] neg_lo:[0,1] neg_hi:[0,1]
	v_pk_fma_f32 v[12:13], v[12:13], v[30:31], v[16:17] op_sel_hi:[1,0,1]
	s_waitcnt lgkmcnt(0)
	v_xor_b32_e32 v16, 0x80000000, v23
	v_pk_add_f32 v[12:13], v[14:15], v[12:13] neg_lo:[0,1] neg_hi:[0,1]
	v_xor_b32_e32 v14, 0x80000000, v19
	v_mov_b32_e32 v15, v18
	v_pk_mul_f32 v[14:15], v[4:5], v[14:15] op_sel_hi:[0,1]
	v_mov_b32_e32 v17, v22
	v_pk_fma_f32 v[14:15], v[18:19], v[26:27], v[14:15] op_sel_hi:[1,0,1]
	v_pk_mul_f32 v[16:17], v[10:11], v[16:17] op_sel_hi:[0,1]
	v_pk_add_f32 v[14:15], v[24:25], v[14:15] neg_lo:[0,1] neg_hi:[0,1]
	v_pk_fma_f32 v[16:17], v[22:23], v[30:31], v[16:17] op_sel_hi:[1,0,1]
	v_cmp_gt_u32_e32 vcc, 16, v0
	v_pk_add_f32 v[14:15], v[14:15], v[16:17] neg_lo:[0,1] neg_hi:[0,1]
	v_pk_add_f32 v[16:17], v[8:9], 0 neg_lo:[1,1] neg_hi:[1,1]
	s_nop 0
	v_pk_mov_b32 v[16:17], v[8:9], v[16:17] op_sel:[1,0]
	; wave barrier
	s_nop 0
	v_pk_mul_f32 v[4:5], v[4:5], v[16:17] op_sel_hi:[0,1]
	v_pk_fma_f32 v[4:5], v[8:9], v[26:27], v[4:5] op_sel_hi:[1,0,1] neg_lo:[1,0,0] neg_hi:[1,0,0]
	v_pk_add_f32 v[8:9], v[20:21], 0 neg_lo:[1,1] neg_hi:[1,1]
	s_nop 0
	v_pk_mov_b32 v[8:9], v[20:21], v[8:9] op_sel:[1,0]
	s_nop 0
	v_pk_mul_f32 v[8:9], v[10:11], v[8:9] op_sel_hi:[0,1]
	v_pk_fma_f32 v[8:9], v[20:21], v[30:31], v[8:9] op_sel_hi:[1,0,1] neg_lo:[1,0,0] neg_hi:[1,0,0]
	ds_write_b64 v6, v[12:13]
	ds_write_b64 v1, v[14:15] offset:1024
	ds_write_b64 v1, v[4:5]
	ds_write_b64 v7, v[8:9]
	s_waitcnt lgkmcnt(0)
	; wave barrier
	s_and_saveexec_b64 s[0:1], vcc
	s_cbranch_execz .LBB54_14
; %bb.9:
	v_or_b32_e32 v8, 16, v0
	v_or_b32_e32 v9, 0x400, v1
	v_cmp_le_i32_e32 vcc, s8, v8
                                        ; implicit-def: $vgpr4_vgpr5
	s_and_saveexec_b64 s[6:7], vcc
	s_xor_b64 s[6:7], exec, s[6:7]
	s_cbranch_execz .LBB54_11
; %bb.10:
	ds_read_b64 v[4:5], v6
	ds_read_b64 v[6:7], v9
	s_waitcnt lgkmcnt(1)
	v_mul_f32_e32 v10, v5, v5
	v_fmac_f32_e32 v10, v4, v4
	v_div_scale_f32 v11, s[8:9], v10, v10, 1.0
	v_rcp_f32_e32 v12, v11
	v_div_scale_f32 v13, vcc, 1.0, v10, 1.0
	s_waitcnt lgkmcnt(0)
	v_xor_b32_e32 v9, 0x80000000, v6
	v_fma_f32 v14, -v11, v12, 1.0
	v_fmac_f32_e32 v12, v14, v12
	v_mul_f32_e32 v14, v13, v12
	v_fma_f32 v15, -v11, v14, v13
	v_fmac_f32_e32 v14, v15, v12
	v_mov_b32_e32 v8, v7
	v_fma_f32 v11, -v11, v14, v13
	v_div_fmas_f32 v11, v11, v12, v14
	v_pk_mul_f32 v[8:9], v[4:5], v[8:9] op_sel:[1,0]
	v_div_fixup_f32 v10, v11, v10, 1.0
	v_pk_fma_f32 v[4:5], v[6:7], v[4:5], v[8:9] op_sel_hi:[1,0,1]
                                        ; implicit-def: $vgpr6
                                        ; implicit-def: $vgpr7
                                        ; implicit-def: $vgpr9
                                        ; implicit-def: $vgpr8
	s_nop 0
	v_pk_mul_f32 v[4:5], v[10:11], v[4:5] op_sel_hi:[0,1]
.LBB54_11:
	s_andn2_saveexec_b64 s[6:7], s[6:7]
	s_cbranch_execz .LBB54_13
; %bb.12:
	ds_read2_b64 v[10:13], v6 offset1:16
	ds_read_b64 v[4:5], v7
	ds_read_b32 v0, v9
	ds_read_b64 v[6:7], v9
	ds_read_b64 v[14:15], v1 offset:128
	s_waitcnt lgkmcnt(4)
	v_xor_b32_e32 v16, 0x80000000, v13
	s_waitcnt lgkmcnt(3)
	v_xor_b32_e32 v18, 0x80000000, v5
	v_mov_b32_e32 v17, v12
	v_mov_b32_e32 v19, v4
	v_pk_mul_f32 v[20:21], v[10:11], v[16:17] op_sel:[1,0]
	s_waitcnt lgkmcnt(0)
	v_pk_mul_f32 v[22:23], v[14:15], v[18:19] op_sel:[1,0]
	v_pk_fma_f32 v[20:21], v[12:13], v[10:11], v[20:21] op_sel_hi:[1,0,1]
	v_pk_fma_f32 v[22:23], v[4:5], v[14:15], v[22:23] op_sel_hi:[1,0,1]
	s_nop 0
	v_pk_add_f32 v[20:21], v[20:21], v[22:23] neg_lo:[0,1] neg_hi:[0,1]
	ds_read2_b32 v[22:23], v9 offset0:1 offset1:32
	ds_read_b32 v24, v9 offset:132
	v_mul_f32_e32 v25, v21, v21
	v_fmac_f32_e32 v25, v20, v20
	v_div_scale_f32 v26, s[8:9], v25, v25, 1.0
	v_rcp_f32_e32 v27, v26
	s_waitcnt lgkmcnt(1)
	v_pk_mul_f32 v[16:17], v[22:23], v[16:17] op_sel_hi:[0,1]
	v_pk_fma_f32 v[12:13], v[12:13], v[0:1], v[16:17] op_sel_hi:[1,0,1]
	v_mov_b32_e32 v0, v23
	v_fma_f32 v28, -v26, v27, 1.0
	v_fmac_f32_e32 v27, v28, v27
	v_div_scale_f32 v28, vcc, 1.0, v25, 1.0
	v_mul_f32_e32 v29, v28, v27
	v_fma_f32 v30, -v26, v29, v28
	v_fmac_f32_e32 v29, v30, v27
	v_fma_f32 v26, -v26, v29, v28
	v_div_fmas_f32 v26, v26, v27, v29
	v_div_fixup_f32 v25, v26, v25, 1.0
	s_waitcnt lgkmcnt(0)
	v_pk_mul_f32 v[18:19], v[24:25], v[18:19] op_sel_hi:[0,1]
	ds_read_b64 v[16:17], v9 offset:128
	v_pk_fma_f32 v[4:5], v[4:5], v[0:1], v[18:19] op_sel_hi:[1,0,1]
	v_fma_f32 v26, 0, v21, v20
	v_fma_f32 v20, v20, 0, -v21
	v_pk_add_f32 v[4:5], v[12:13], v[4:5] neg_lo:[0,1] neg_hi:[0,1]
	v_mul_f32_e32 v20, v20, v25
	v_xor_b32_e32 v12, 0x80000000, v5
	v_mov_b32_e32 v13, v4
	v_mul_f32_e32 v26, v26, v25
	v_pk_mul_f32 v[12:13], v[20:21], v[12:13] op_sel_hi:[0,1]
	v_pk_fma_f32 v[4:5], v[4:5], v[26:27], v[12:13] op_sel_hi:[1,0,1]
	ds_write_b64 v1, v[4:5] offset:768
	s_waitcnt lgkmcnt(1)
	v_xor_b32_e32 v4, 0x80000000, v17
	v_mov_b32_e32 v5, v16
	v_pk_mul_f32 v[4:5], v[10:11], v[4:5] op_sel:[1,0]
	v_mov_b32_e32 v0, v8
	v_pk_fma_f32 v[4:5], v[16:17], v[10:11], v[4:5] op_sel_hi:[1,0,1]
	v_xor_b32_e32 v10, 0x80000000, v7
	v_mov_b32_e32 v11, v6
	v_pk_mul_f32 v[10:11], v[14:15], v[10:11] op_sel:[1,0]
	s_nop 0
	v_pk_fma_f32 v[6:7], v[6:7], v[14:15], v[10:11] op_sel_hi:[1,0,1]
	s_nop 0
	v_pk_add_f32 v[4:5], v[4:5], v[6:7] neg_lo:[0,1] neg_hi:[0,1]
	s_nop 0
	v_xor_b32_e32 v6, 0x80000000, v5
	v_mov_b32_e32 v7, v4
	v_pk_mul_f32 v[6:7], v[20:21], v[6:7] op_sel_hi:[0,1]
	v_pk_fma_f32 v[4:5], v[4:5], v[26:27], v[6:7] op_sel_hi:[1,0,1]
.LBB54_13:
	s_or_b64 exec, exec, s[6:7]
	v_lshlrev_b32_e32 v0, 3, v0
	ds_write_b64 v0, v[4:5] offset:768
.LBB54_14:
	s_or_b64 exec, exec, s[0:1]
	s_waitcnt lgkmcnt(0)
	; wave barrier
	s_and_saveexec_b64 s[0:1], s[2:3]
	s_cbranch_execz .LBB54_16
; %bb.15:
	ds_read_b64 v[0:1], v1 offset:768
	v_lshl_add_u64 v[2:3], v[2:3], 3, s[4:5]
	s_waitcnt lgkmcnt(0)
	global_store_dwordx2 v[2:3], v[0:1], off
.LBB54_16:
	s_endpgm
	.section	.rodata,"a",@progbits
	.p2align	6, 0x0
	.amdhsa_kernel _ZN9rocsparseL44gtsv_nopivot_strided_batch_pcr_shared_kernelILj32E21rocsparse_complex_numIfEEEviiiPKT0_S5_S5_PS3_
		.amdhsa_group_segment_fixed_size 1280
		.amdhsa_private_segment_fixed_size 0
		.amdhsa_kernarg_size 48
		.amdhsa_user_sgpr_count 2
		.amdhsa_user_sgpr_dispatch_ptr 0
		.amdhsa_user_sgpr_queue_ptr 0
		.amdhsa_user_sgpr_kernarg_segment_ptr 1
		.amdhsa_user_sgpr_dispatch_id 0
		.amdhsa_user_sgpr_kernarg_preload_length 0
		.amdhsa_user_sgpr_kernarg_preload_offset 0
		.amdhsa_user_sgpr_private_segment_size 0
		.amdhsa_uses_dynamic_stack 0
		.amdhsa_enable_private_segment 0
		.amdhsa_system_sgpr_workgroup_id_x 1
		.amdhsa_system_sgpr_workgroup_id_y 0
		.amdhsa_system_sgpr_workgroup_id_z 0
		.amdhsa_system_sgpr_workgroup_info 0
		.amdhsa_system_vgpr_workitem_id 0
		.amdhsa_next_free_vgpr 32
		.amdhsa_next_free_sgpr 10
		.amdhsa_accum_offset 32
		.amdhsa_reserve_vcc 1
		.amdhsa_float_round_mode_32 0
		.amdhsa_float_round_mode_16_64 0
		.amdhsa_float_denorm_mode_32 3
		.amdhsa_float_denorm_mode_16_64 3
		.amdhsa_dx10_clamp 1
		.amdhsa_ieee_mode 1
		.amdhsa_fp16_overflow 0
		.amdhsa_tg_split 0
		.amdhsa_exception_fp_ieee_invalid_op 0
		.amdhsa_exception_fp_denorm_src 0
		.amdhsa_exception_fp_ieee_div_zero 0
		.amdhsa_exception_fp_ieee_overflow 0
		.amdhsa_exception_fp_ieee_underflow 0
		.amdhsa_exception_fp_ieee_inexact 0
		.amdhsa_exception_int_div_zero 0
	.end_amdhsa_kernel
	.section	.text._ZN9rocsparseL44gtsv_nopivot_strided_batch_pcr_shared_kernelILj32E21rocsparse_complex_numIfEEEviiiPKT0_S5_S5_PS3_,"axG",@progbits,_ZN9rocsparseL44gtsv_nopivot_strided_batch_pcr_shared_kernelILj32E21rocsparse_complex_numIfEEEviiiPKT0_S5_S5_PS3_,comdat
.Lfunc_end54:
	.size	_ZN9rocsparseL44gtsv_nopivot_strided_batch_pcr_shared_kernelILj32E21rocsparse_complex_numIfEEEviiiPKT0_S5_S5_PS3_, .Lfunc_end54-_ZN9rocsparseL44gtsv_nopivot_strided_batch_pcr_shared_kernelILj32E21rocsparse_complex_numIfEEEviiiPKT0_S5_S5_PS3_
                                        ; -- End function
	.set _ZN9rocsparseL44gtsv_nopivot_strided_batch_pcr_shared_kernelILj32E21rocsparse_complex_numIfEEEviiiPKT0_S5_S5_PS3_.num_vgpr, 32
	.set _ZN9rocsparseL44gtsv_nopivot_strided_batch_pcr_shared_kernelILj32E21rocsparse_complex_numIfEEEviiiPKT0_S5_S5_PS3_.num_agpr, 0
	.set _ZN9rocsparseL44gtsv_nopivot_strided_batch_pcr_shared_kernelILj32E21rocsparse_complex_numIfEEEviiiPKT0_S5_S5_PS3_.numbered_sgpr, 10
	.set _ZN9rocsparseL44gtsv_nopivot_strided_batch_pcr_shared_kernelILj32E21rocsparse_complex_numIfEEEviiiPKT0_S5_S5_PS3_.num_named_barrier, 0
	.set _ZN9rocsparseL44gtsv_nopivot_strided_batch_pcr_shared_kernelILj32E21rocsparse_complex_numIfEEEviiiPKT0_S5_S5_PS3_.private_seg_size, 0
	.set _ZN9rocsparseL44gtsv_nopivot_strided_batch_pcr_shared_kernelILj32E21rocsparse_complex_numIfEEEviiiPKT0_S5_S5_PS3_.uses_vcc, 1
	.set _ZN9rocsparseL44gtsv_nopivot_strided_batch_pcr_shared_kernelILj32E21rocsparse_complex_numIfEEEviiiPKT0_S5_S5_PS3_.uses_flat_scratch, 0
	.set _ZN9rocsparseL44gtsv_nopivot_strided_batch_pcr_shared_kernelILj32E21rocsparse_complex_numIfEEEviiiPKT0_S5_S5_PS3_.has_dyn_sized_stack, 0
	.set _ZN9rocsparseL44gtsv_nopivot_strided_batch_pcr_shared_kernelILj32E21rocsparse_complex_numIfEEEviiiPKT0_S5_S5_PS3_.has_recursion, 0
	.set _ZN9rocsparseL44gtsv_nopivot_strided_batch_pcr_shared_kernelILj32E21rocsparse_complex_numIfEEEviiiPKT0_S5_S5_PS3_.has_indirect_call, 0
	.section	.AMDGPU.csdata,"",@progbits
; Kernel info:
; codeLenInByte = 3388
; TotalNumSgprs: 16
; NumVgprs: 32
; NumAgprs: 0
; TotalNumVgprs: 32
; ScratchSize: 0
; MemoryBound: 0
; FloatMode: 240
; IeeeMode: 1
; LDSByteSize: 1280 bytes/workgroup (compile time only)
; SGPRBlocks: 1
; VGPRBlocks: 3
; NumSGPRsForWavesPerEU: 16
; NumVGPRsForWavesPerEU: 32
; AccumOffset: 32
; Occupancy: 8
; WaveLimiterHint : 0
; COMPUTE_PGM_RSRC2:SCRATCH_EN: 0
; COMPUTE_PGM_RSRC2:USER_SGPR: 2
; COMPUTE_PGM_RSRC2:TRAP_HANDLER: 0
; COMPUTE_PGM_RSRC2:TGID_X_EN: 1
; COMPUTE_PGM_RSRC2:TGID_Y_EN: 0
; COMPUTE_PGM_RSRC2:TGID_Z_EN: 0
; COMPUTE_PGM_RSRC2:TIDIG_COMP_CNT: 0
; COMPUTE_PGM_RSRC3_GFX90A:ACCUM_OFFSET: 7
; COMPUTE_PGM_RSRC3_GFX90A:TG_SPLIT: 0
	.section	.text._ZN9rocsparseL44gtsv_nopivot_strided_batch_pcr_shared_kernelILj64E21rocsparse_complex_numIfEEEviiiPKT0_S5_S5_PS3_,"axG",@progbits,_ZN9rocsparseL44gtsv_nopivot_strided_batch_pcr_shared_kernelILj64E21rocsparse_complex_numIfEEEviiiPKT0_S5_S5_PS3_,comdat
	.globl	_ZN9rocsparseL44gtsv_nopivot_strided_batch_pcr_shared_kernelILj64E21rocsparse_complex_numIfEEEviiiPKT0_S5_S5_PS3_ ; -- Begin function _ZN9rocsparseL44gtsv_nopivot_strided_batch_pcr_shared_kernelILj64E21rocsparse_complex_numIfEEEviiiPKT0_S5_S5_PS3_
	.p2align	8
	.type	_ZN9rocsparseL44gtsv_nopivot_strided_batch_pcr_shared_kernelILj64E21rocsparse_complex_numIfEEEviiiPKT0_S5_S5_PS3_,@function
_ZN9rocsparseL44gtsv_nopivot_strided_batch_pcr_shared_kernelILj64E21rocsparse_complex_numIfEEEviiiPKT0_S5_S5_PS3_: ; @_ZN9rocsparseL44gtsv_nopivot_strided_batch_pcr_shared_kernelILj64E21rocsparse_complex_numIfEEEviiiPKT0_S5_S5_PS3_
; %bb.0:
	s_load_dword s3, s[0:1], 0x8
	s_load_dword s8, s[0:1], 0x0
	v_mov_b32_e32 v4, 0
	v_mov_b32_e32 v6, 0
	;; [unrolled: 1-line block ×3, first 2 shown]
	s_waitcnt lgkmcnt(0)
	s_mul_i32 s4, s3, s2
	v_add_u32_e32 v2, s4, v0
	v_cmp_gt_i32_e64 s[2:3], s8, v0
	v_ashrrev_i32_e32 v3, 31, v2
	s_and_saveexec_b64 s[4:5], s[2:3]
	s_cbranch_execz .LBB55_2
; %bb.1:
	s_load_dwordx2 s[6:7], s[0:1], 0x10
	s_waitcnt lgkmcnt(0)
	v_lshl_add_u64 v[6:7], v[2:3], 3, s[6:7]
	global_load_dwordx2 v[6:7], v[6:7], off
.LBB55_2:
	s_or_b64 exec, exec, s[4:5]
	v_lshlrev_b32_e32 v1, 3, v0
	v_mov_b32_e32 v5, 0
	s_waitcnt vmcnt(0)
	ds_write_b64 v1, v[6:7]
	s_and_saveexec_b64 s[4:5], s[2:3]
	s_cbranch_execz .LBB55_4
; %bb.3:
	s_load_dwordx2 s[6:7], s[0:1], 0x18
	s_waitcnt lgkmcnt(0)
	v_lshl_add_u64 v[4:5], v[2:3], 3, s[6:7]
	global_load_dwordx2 v[4:5], v[4:5], off
.LBB55_4:
	s_or_b64 exec, exec, s[4:5]
	s_load_dwordx2 s[4:5], s[0:1], 0x28
	s_waitcnt vmcnt(0)
	ds_write_b64 v1, v[4:5] offset:512
	v_mov_b32_e32 v4, 0
	v_mov_b32_e32 v8, 0
	;; [unrolled: 1-line block ×3, first 2 shown]
	s_and_saveexec_b64 s[6:7], s[2:3]
	s_cbranch_execz .LBB55_6
; %bb.5:
	s_load_dwordx2 s[0:1], s[0:1], 0x20
	s_waitcnt lgkmcnt(0)
	v_lshl_add_u64 v[6:7], v[2:3], 3, s[0:1]
	global_load_dwordx2 v[8:9], v[6:7], off
.LBB55_6:
	s_or_b64 exec, exec, s[6:7]
	v_or_b32_e32 v6, 0x200, v1
	v_or_b32_e32 v7, 0x400, v1
	v_mov_b32_e32 v5, 0
	s_waitcnt vmcnt(0)
	ds_write_b64 v1, v[8:9] offset:1024
	s_and_saveexec_b64 s[0:1], s[2:3]
	s_cbranch_execz .LBB55_8
; %bb.7:
	s_waitcnt lgkmcnt(0)
	v_lshl_add_u64 v[4:5], v[2:3], 3, s[4:5]
	global_load_dwordx2 v[4:5], v[4:5], off
.LBB55_8:
	s_or_b64 exec, exec, s[0:1]
	s_waitcnt vmcnt(0)
	ds_write_b64 v1, v[4:5] offset:2048
	v_sub_u32_e64 v4, v0, 1 clamp
	v_lshlrev_b32_e32 v16, 3, v4
	s_waitcnt lgkmcnt(0)
	; wave barrier
	ds_read2st64_b64 v[8:11], v16 offset1:1
	s_add_i32 s0, s8, -1
	v_add_u32_e32 v4, 1, v0
	v_min_i32_e32 v15, s0, v4
	ds_read_b64 v[4:5], v1
	s_waitcnt lgkmcnt(1)
	v_mul_f32_e32 v12, v11, v11
	v_fmac_f32_e32 v12, v10, v10
	v_div_scale_f32 v13, s[6:7], v12, v12, 1.0
	v_rcp_f32_e32 v14, v13
	v_lshlrev_b32_e32 v20, 3, v15
	v_fma_f32 v17, -v13, v14, 1.0
	v_fmac_f32_e32 v14, v17, v14
	v_div_scale_f32 v17, vcc, 1.0, v12, 1.0
	v_mul_f32_e32 v18, v17, v14
	v_fma_f32 v19, -v13, v18, v17
	v_fmac_f32_e32 v18, v19, v14
	v_fma_f32 v13, -v13, v18, v17
	v_div_fmas_f32 v13, v13, v14, v18
	v_div_fixup_f32 v17, v13, v12, 1.0
	ds_read2st64_b64 v[12:15], v20 offset1:1
	ds_read_b64 v[24:25], v1 offset:2048
	s_waitcnt lgkmcnt(2)
	v_mul_f32_e32 v18, v11, v5
	v_fmac_f32_e32 v18, v4, v10
	v_mul_f32_e32 v26, v17, v18
	s_waitcnt lgkmcnt(1)
	v_mul_f32_e32 v18, v15, v15
	v_fmac_f32_e32 v18, v14, v14
	v_div_scale_f32 v19, s[6:7], v18, v18, 1.0
	v_rcp_f32_e32 v21, v19
	v_mul_f32_e64 v4, v11, -v4
	v_fmac_f32_e32 v4, v5, v10
	ds_read_b64 v[10:11], v7
	ds_read_b64 v[28:29], v6
	v_fma_f32 v5, -v19, v21, 1.0
	v_fmac_f32_e32 v21, v5, v21
	v_div_scale_f32 v5, vcc, 1.0, v18, 1.0
	v_mul_f32_e32 v4, v4, v17
	v_mul_f32_e32 v17, v5, v21
	v_fma_f32 v22, -v19, v17, v5
	v_fmac_f32_e32 v17, v22, v21
	v_fma_f32 v5, -v19, v17, v5
	v_div_fmas_f32 v5, v5, v21, v17
	s_waitcnt lgkmcnt(1)
	v_mul_f32_e32 v17, v15, v11
	v_div_fixup_f32 v5, v5, v18, 1.0
	v_fmac_f32_e32 v17, v10, v14
	v_mul_f32_e32 v30, v5, v17
	ds_read2st64_b64 v[16:19], v16 offset0:2 offset1:4
	v_mul_f32_e64 v10, v15, -v10
	v_fmac_f32_e32 v10, v11, v14
	ds_read2st64_b64 v[20:23], v20 offset0:2 offset1:4
	v_mul_f32_e32 v10, v10, v5
	s_waitcnt lgkmcnt(1)
	v_xor_b32_e32 v14, 0x80000000, v17
	v_mov_b32_e32 v15, v16
	v_pk_mul_f32 v[14:15], v[4:5], v[14:15] op_sel_hi:[0,1]
	v_pk_fma_f32 v[14:15], v[16:17], v[26:27], v[14:15] op_sel_hi:[1,0,1]
	v_xor_b32_e32 v16, 0x80000000, v13
	v_mov_b32_e32 v17, v12
	v_pk_mul_f32 v[16:17], v[10:11], v[16:17] op_sel_hi:[0,1]
	v_pk_add_f32 v[14:15], v[28:29], v[14:15] neg_lo:[0,1] neg_hi:[0,1]
	v_pk_fma_f32 v[12:13], v[12:13], v[30:31], v[16:17] op_sel_hi:[1,0,1]
	s_waitcnt lgkmcnt(0)
	v_xor_b32_e32 v16, 0x80000000, v23
	v_pk_add_f32 v[12:13], v[14:15], v[12:13] neg_lo:[0,1] neg_hi:[0,1]
	v_xor_b32_e32 v14, 0x80000000, v19
	v_mov_b32_e32 v15, v18
	v_pk_mul_f32 v[14:15], v[4:5], v[14:15] op_sel_hi:[0,1]
	v_mov_b32_e32 v17, v22
	v_pk_fma_f32 v[14:15], v[18:19], v[26:27], v[14:15] op_sel_hi:[1,0,1]
	v_pk_mul_f32 v[16:17], v[10:11], v[16:17] op_sel_hi:[0,1]
	v_pk_add_f32 v[14:15], v[24:25], v[14:15] neg_lo:[0,1] neg_hi:[0,1]
	v_pk_fma_f32 v[16:17], v[22:23], v[30:31], v[16:17] op_sel_hi:[1,0,1]
	s_nop 0
	v_pk_add_f32 v[14:15], v[14:15], v[16:17] neg_lo:[0,1] neg_hi:[0,1]
	v_pk_add_f32 v[16:17], v[8:9], 0 neg_lo:[1,1] neg_hi:[1,1]
	; wave barrier
	s_nop 0
	v_pk_mov_b32 v[16:17], v[8:9], v[16:17] op_sel:[1,0]
	s_nop 0
	v_pk_mul_f32 v[4:5], v[4:5], v[16:17] op_sel_hi:[0,1]
	v_pk_fma_f32 v[4:5], v[8:9], v[26:27], v[4:5] op_sel_hi:[1,0,1] neg_lo:[1,0,0] neg_hi:[1,0,0]
	v_pk_add_f32 v[8:9], v[20:21], 0 neg_lo:[1,1] neg_hi:[1,1]
	s_nop 0
	v_pk_mov_b32 v[8:9], v[20:21], v[8:9] op_sel:[1,0]
	s_nop 0
	v_pk_mul_f32 v[8:9], v[10:11], v[8:9] op_sel_hi:[0,1]
	v_pk_fma_f32 v[8:9], v[20:21], v[30:31], v[8:9] op_sel_hi:[1,0,1] neg_lo:[1,0,0] neg_hi:[1,0,0]
	ds_write_b64 v6, v[12:13]
	ds_write_b64 v1, v[14:15] offset:2048
	ds_write_b64 v1, v[4:5]
	ds_write_b64 v7, v[8:9]
	v_sub_u32_e64 v4, v0, 2 clamp
	v_lshlrev_b32_e32 v16, 3, v4
	s_waitcnt lgkmcnt(0)
	; wave barrier
	ds_read2st64_b64 v[8:11], v16 offset1:1
	v_add_u32_e32 v4, 2, v0
	v_min_i32_e32 v15, s0, v4
	ds_read_b64 v[4:5], v1
	v_lshlrev_b32_e32 v20, 3, v15
	s_waitcnt lgkmcnt(1)
	v_mul_f32_e32 v12, v11, v11
	v_fmac_f32_e32 v12, v10, v10
	v_div_scale_f32 v13, s[6:7], v12, v12, 1.0
	v_rcp_f32_e32 v14, v13
	s_nop 0
	v_fma_f32 v17, -v13, v14, 1.0
	v_fmac_f32_e32 v14, v17, v14
	v_div_scale_f32 v17, vcc, 1.0, v12, 1.0
	v_mul_f32_e32 v18, v17, v14
	v_fma_f32 v19, -v13, v18, v17
	v_fmac_f32_e32 v18, v19, v14
	v_fma_f32 v13, -v13, v18, v17
	v_div_fmas_f32 v13, v13, v14, v18
	v_div_fixup_f32 v17, v13, v12, 1.0
	ds_read2st64_b64 v[12:15], v20 offset1:1
	ds_read_b64 v[24:25], v1 offset:2048
	s_waitcnt lgkmcnt(2)
	v_mul_f32_e32 v18, v11, v5
	v_fmac_f32_e32 v18, v4, v10
	v_mul_f32_e32 v26, v17, v18
	s_waitcnt lgkmcnt(1)
	v_mul_f32_e32 v18, v15, v15
	v_fmac_f32_e32 v18, v14, v14
	v_div_scale_f32 v19, s[6:7], v18, v18, 1.0
	v_rcp_f32_e32 v21, v19
	v_mul_f32_e64 v4, v11, -v4
	v_fmac_f32_e32 v4, v5, v10
	ds_read_b64 v[10:11], v7
	ds_read_b64 v[28:29], v6
	v_fma_f32 v5, -v19, v21, 1.0
	v_fmac_f32_e32 v21, v5, v21
	v_div_scale_f32 v5, vcc, 1.0, v18, 1.0
	v_mul_f32_e32 v4, v4, v17
	v_mul_f32_e32 v17, v5, v21
	v_fma_f32 v22, -v19, v17, v5
	v_fmac_f32_e32 v17, v22, v21
	v_fma_f32 v5, -v19, v17, v5
	v_div_fmas_f32 v5, v5, v21, v17
	s_waitcnt lgkmcnt(1)
	v_mul_f32_e32 v17, v15, v11
	v_div_fixup_f32 v5, v5, v18, 1.0
	v_fmac_f32_e32 v17, v10, v14
	v_mul_f32_e32 v30, v5, v17
	ds_read2st64_b64 v[16:19], v16 offset0:2 offset1:4
	v_mul_f32_e64 v10, v15, -v10
	v_fmac_f32_e32 v10, v11, v14
	ds_read2st64_b64 v[20:23], v20 offset0:2 offset1:4
	v_mul_f32_e32 v10, v10, v5
	s_waitcnt lgkmcnt(1)
	v_xor_b32_e32 v14, 0x80000000, v17
	v_mov_b32_e32 v15, v16
	v_pk_mul_f32 v[14:15], v[4:5], v[14:15] op_sel_hi:[0,1]
	v_pk_fma_f32 v[14:15], v[16:17], v[26:27], v[14:15] op_sel_hi:[1,0,1]
	v_xor_b32_e32 v16, 0x80000000, v13
	v_mov_b32_e32 v17, v12
	v_pk_mul_f32 v[16:17], v[10:11], v[16:17] op_sel_hi:[0,1]
	v_pk_add_f32 v[14:15], v[28:29], v[14:15] neg_lo:[0,1] neg_hi:[0,1]
	v_pk_fma_f32 v[12:13], v[12:13], v[30:31], v[16:17] op_sel_hi:[1,0,1]
	s_waitcnt lgkmcnt(0)
	v_xor_b32_e32 v16, 0x80000000, v23
	v_pk_add_f32 v[12:13], v[14:15], v[12:13] neg_lo:[0,1] neg_hi:[0,1]
	v_xor_b32_e32 v14, 0x80000000, v19
	v_mov_b32_e32 v15, v18
	v_pk_mul_f32 v[14:15], v[4:5], v[14:15] op_sel_hi:[0,1]
	v_mov_b32_e32 v17, v22
	v_pk_fma_f32 v[14:15], v[18:19], v[26:27], v[14:15] op_sel_hi:[1,0,1]
	v_pk_mul_f32 v[16:17], v[10:11], v[16:17] op_sel_hi:[0,1]
	v_pk_add_f32 v[14:15], v[24:25], v[14:15] neg_lo:[0,1] neg_hi:[0,1]
	v_pk_fma_f32 v[16:17], v[22:23], v[30:31], v[16:17] op_sel_hi:[1,0,1]
	s_nop 0
	v_pk_add_f32 v[14:15], v[14:15], v[16:17] neg_lo:[0,1] neg_hi:[0,1]
	v_pk_add_f32 v[16:17], v[8:9], 0 neg_lo:[1,1] neg_hi:[1,1]
	; wave barrier
	s_nop 0
	v_pk_mov_b32 v[16:17], v[8:9], v[16:17] op_sel:[1,0]
	s_nop 0
	v_pk_mul_f32 v[4:5], v[4:5], v[16:17] op_sel_hi:[0,1]
	v_pk_fma_f32 v[4:5], v[8:9], v[26:27], v[4:5] op_sel_hi:[1,0,1] neg_lo:[1,0,0] neg_hi:[1,0,0]
	v_pk_add_f32 v[8:9], v[20:21], 0 neg_lo:[1,1] neg_hi:[1,1]
	s_nop 0
	v_pk_mov_b32 v[8:9], v[20:21], v[8:9] op_sel:[1,0]
	s_nop 0
	v_pk_mul_f32 v[8:9], v[10:11], v[8:9] op_sel_hi:[0,1]
	v_pk_fma_f32 v[8:9], v[20:21], v[30:31], v[8:9] op_sel_hi:[1,0,1] neg_lo:[1,0,0] neg_hi:[1,0,0]
	ds_write_b64 v6, v[12:13]
	ds_write_b64 v1, v[14:15] offset:2048
	ds_write_b64 v1, v[4:5]
	ds_write_b64 v7, v[8:9]
	v_sub_u32_e64 v4, v0, 4 clamp
	v_lshlrev_b32_e32 v16, 3, v4
	s_waitcnt lgkmcnt(0)
	; wave barrier
	ds_read2st64_b64 v[8:11], v16 offset1:1
	v_add_u32_e32 v4, 4, v0
	v_min_i32_e32 v15, s0, v4
	ds_read_b64 v[4:5], v1
	v_lshlrev_b32_e32 v20, 3, v15
	s_waitcnt lgkmcnt(1)
	v_mul_f32_e32 v12, v11, v11
	v_fmac_f32_e32 v12, v10, v10
	v_div_scale_f32 v13, s[6:7], v12, v12, 1.0
	v_rcp_f32_e32 v14, v13
	s_nop 0
	v_fma_f32 v17, -v13, v14, 1.0
	v_fmac_f32_e32 v14, v17, v14
	v_div_scale_f32 v17, vcc, 1.0, v12, 1.0
	v_mul_f32_e32 v18, v17, v14
	v_fma_f32 v19, -v13, v18, v17
	v_fmac_f32_e32 v18, v19, v14
	v_fma_f32 v13, -v13, v18, v17
	v_div_fmas_f32 v13, v13, v14, v18
	v_div_fixup_f32 v17, v13, v12, 1.0
	ds_read2st64_b64 v[12:15], v20 offset1:1
	ds_read_b64 v[24:25], v1 offset:2048
	s_waitcnt lgkmcnt(2)
	v_mul_f32_e32 v18, v11, v5
	v_fmac_f32_e32 v18, v4, v10
	v_mul_f32_e32 v26, v17, v18
	s_waitcnt lgkmcnt(1)
	v_mul_f32_e32 v18, v15, v15
	v_fmac_f32_e32 v18, v14, v14
	v_div_scale_f32 v19, s[6:7], v18, v18, 1.0
	v_rcp_f32_e32 v21, v19
	v_mul_f32_e64 v4, v11, -v4
	v_fmac_f32_e32 v4, v5, v10
	ds_read_b64 v[10:11], v7
	ds_read_b64 v[28:29], v6
	v_fma_f32 v5, -v19, v21, 1.0
	v_fmac_f32_e32 v21, v5, v21
	v_div_scale_f32 v5, vcc, 1.0, v18, 1.0
	v_mul_f32_e32 v4, v4, v17
	v_mul_f32_e32 v17, v5, v21
	v_fma_f32 v22, -v19, v17, v5
	v_fmac_f32_e32 v17, v22, v21
	v_fma_f32 v5, -v19, v17, v5
	v_div_fmas_f32 v5, v5, v21, v17
	s_waitcnt lgkmcnt(1)
	v_mul_f32_e32 v17, v15, v11
	v_div_fixup_f32 v5, v5, v18, 1.0
	v_fmac_f32_e32 v17, v10, v14
	v_mul_f32_e32 v30, v5, v17
	ds_read2st64_b64 v[16:19], v16 offset0:2 offset1:4
	v_mul_f32_e64 v10, v15, -v10
	v_fmac_f32_e32 v10, v11, v14
	ds_read2st64_b64 v[20:23], v20 offset0:2 offset1:4
	v_mul_f32_e32 v10, v10, v5
	s_waitcnt lgkmcnt(1)
	v_xor_b32_e32 v14, 0x80000000, v17
	v_mov_b32_e32 v15, v16
	v_pk_mul_f32 v[14:15], v[4:5], v[14:15] op_sel_hi:[0,1]
	v_pk_fma_f32 v[14:15], v[16:17], v[26:27], v[14:15] op_sel_hi:[1,0,1]
	v_xor_b32_e32 v16, 0x80000000, v13
	v_mov_b32_e32 v17, v12
	v_pk_mul_f32 v[16:17], v[10:11], v[16:17] op_sel_hi:[0,1]
	v_pk_add_f32 v[14:15], v[28:29], v[14:15] neg_lo:[0,1] neg_hi:[0,1]
	v_pk_fma_f32 v[12:13], v[12:13], v[30:31], v[16:17] op_sel_hi:[1,0,1]
	s_waitcnt lgkmcnt(0)
	v_xor_b32_e32 v16, 0x80000000, v23
	v_pk_add_f32 v[12:13], v[14:15], v[12:13] neg_lo:[0,1] neg_hi:[0,1]
	v_xor_b32_e32 v14, 0x80000000, v19
	v_mov_b32_e32 v15, v18
	v_pk_mul_f32 v[14:15], v[4:5], v[14:15] op_sel_hi:[0,1]
	v_mov_b32_e32 v17, v22
	v_pk_fma_f32 v[14:15], v[18:19], v[26:27], v[14:15] op_sel_hi:[1,0,1]
	v_pk_mul_f32 v[16:17], v[10:11], v[16:17] op_sel_hi:[0,1]
	v_pk_add_f32 v[14:15], v[24:25], v[14:15] neg_lo:[0,1] neg_hi:[0,1]
	v_pk_fma_f32 v[16:17], v[22:23], v[30:31], v[16:17] op_sel_hi:[1,0,1]
	s_nop 0
	v_pk_add_f32 v[14:15], v[14:15], v[16:17] neg_lo:[0,1] neg_hi:[0,1]
	v_pk_add_f32 v[16:17], v[8:9], 0 neg_lo:[1,1] neg_hi:[1,1]
	; wave barrier
	s_nop 0
	v_pk_mov_b32 v[16:17], v[8:9], v[16:17] op_sel:[1,0]
	s_nop 0
	v_pk_mul_f32 v[4:5], v[4:5], v[16:17] op_sel_hi:[0,1]
	v_pk_fma_f32 v[4:5], v[8:9], v[26:27], v[4:5] op_sel_hi:[1,0,1] neg_lo:[1,0,0] neg_hi:[1,0,0]
	v_pk_add_f32 v[8:9], v[20:21], 0 neg_lo:[1,1] neg_hi:[1,1]
	s_nop 0
	v_pk_mov_b32 v[8:9], v[20:21], v[8:9] op_sel:[1,0]
	s_nop 0
	v_pk_mul_f32 v[8:9], v[10:11], v[8:9] op_sel_hi:[0,1]
	v_pk_fma_f32 v[8:9], v[20:21], v[30:31], v[8:9] op_sel_hi:[1,0,1] neg_lo:[1,0,0] neg_hi:[1,0,0]
	ds_write_b64 v6, v[12:13]
	ds_write_b64 v1, v[14:15] offset:2048
	ds_write_b64 v1, v[4:5]
	ds_write_b64 v7, v[8:9]
	v_sub_u32_e64 v4, v0, 8 clamp
	v_lshlrev_b32_e32 v16, 3, v4
	s_waitcnt lgkmcnt(0)
	; wave barrier
	ds_read2st64_b64 v[8:11], v16 offset1:1
	v_add_u32_e32 v4, 8, v0
	v_min_i32_e32 v15, s0, v4
	ds_read_b64 v[4:5], v1
	v_lshlrev_b32_e32 v20, 3, v15
	s_waitcnt lgkmcnt(1)
	v_mul_f32_e32 v12, v11, v11
	v_fmac_f32_e32 v12, v10, v10
	v_div_scale_f32 v13, s[6:7], v12, v12, 1.0
	v_rcp_f32_e32 v14, v13
	s_nop 0
	v_fma_f32 v17, -v13, v14, 1.0
	v_fmac_f32_e32 v14, v17, v14
	v_div_scale_f32 v17, vcc, 1.0, v12, 1.0
	v_mul_f32_e32 v18, v17, v14
	v_fma_f32 v19, -v13, v18, v17
	v_fmac_f32_e32 v18, v19, v14
	v_fma_f32 v13, -v13, v18, v17
	v_div_fmas_f32 v13, v13, v14, v18
	v_div_fixup_f32 v17, v13, v12, 1.0
	ds_read2st64_b64 v[12:15], v20 offset1:1
	ds_read_b64 v[24:25], v1 offset:2048
	s_waitcnt lgkmcnt(2)
	v_mul_f32_e32 v18, v11, v5
	v_fmac_f32_e32 v18, v4, v10
	v_mul_f32_e32 v26, v17, v18
	s_waitcnt lgkmcnt(1)
	v_mul_f32_e32 v18, v15, v15
	v_fmac_f32_e32 v18, v14, v14
	v_div_scale_f32 v19, s[6:7], v18, v18, 1.0
	v_rcp_f32_e32 v21, v19
	v_mul_f32_e64 v4, v11, -v4
	v_fmac_f32_e32 v4, v5, v10
	ds_read_b64 v[10:11], v7
	ds_read_b64 v[28:29], v6
	v_fma_f32 v5, -v19, v21, 1.0
	v_fmac_f32_e32 v21, v5, v21
	v_div_scale_f32 v5, vcc, 1.0, v18, 1.0
	v_mul_f32_e32 v4, v4, v17
	v_mul_f32_e32 v17, v5, v21
	v_fma_f32 v22, -v19, v17, v5
	v_fmac_f32_e32 v17, v22, v21
	v_fma_f32 v5, -v19, v17, v5
	v_div_fmas_f32 v5, v5, v21, v17
	s_waitcnt lgkmcnt(1)
	v_mul_f32_e32 v17, v15, v11
	v_div_fixup_f32 v5, v5, v18, 1.0
	v_fmac_f32_e32 v17, v10, v14
	v_mul_f32_e32 v30, v5, v17
	ds_read2st64_b64 v[16:19], v16 offset0:2 offset1:4
	v_mul_f32_e64 v10, v15, -v10
	v_fmac_f32_e32 v10, v11, v14
	ds_read2st64_b64 v[20:23], v20 offset0:2 offset1:4
	v_mul_f32_e32 v10, v10, v5
	s_waitcnt lgkmcnt(1)
	v_xor_b32_e32 v14, 0x80000000, v17
	v_mov_b32_e32 v15, v16
	v_pk_mul_f32 v[14:15], v[4:5], v[14:15] op_sel_hi:[0,1]
	v_pk_fma_f32 v[14:15], v[16:17], v[26:27], v[14:15] op_sel_hi:[1,0,1]
	v_xor_b32_e32 v16, 0x80000000, v13
	v_mov_b32_e32 v17, v12
	v_pk_mul_f32 v[16:17], v[10:11], v[16:17] op_sel_hi:[0,1]
	v_pk_add_f32 v[14:15], v[28:29], v[14:15] neg_lo:[0,1] neg_hi:[0,1]
	v_pk_fma_f32 v[12:13], v[12:13], v[30:31], v[16:17] op_sel_hi:[1,0,1]
	s_waitcnt lgkmcnt(0)
	v_xor_b32_e32 v16, 0x80000000, v23
	v_pk_add_f32 v[12:13], v[14:15], v[12:13] neg_lo:[0,1] neg_hi:[0,1]
	v_xor_b32_e32 v14, 0x80000000, v19
	v_mov_b32_e32 v15, v18
	v_pk_mul_f32 v[14:15], v[4:5], v[14:15] op_sel_hi:[0,1]
	v_mov_b32_e32 v17, v22
	v_pk_fma_f32 v[14:15], v[18:19], v[26:27], v[14:15] op_sel_hi:[1,0,1]
	v_pk_mul_f32 v[16:17], v[10:11], v[16:17] op_sel_hi:[0,1]
	v_pk_add_f32 v[14:15], v[24:25], v[14:15] neg_lo:[0,1] neg_hi:[0,1]
	v_pk_fma_f32 v[16:17], v[22:23], v[30:31], v[16:17] op_sel_hi:[1,0,1]
	s_nop 0
	v_pk_add_f32 v[14:15], v[14:15], v[16:17] neg_lo:[0,1] neg_hi:[0,1]
	v_pk_add_f32 v[16:17], v[8:9], 0 neg_lo:[1,1] neg_hi:[1,1]
	; wave barrier
	s_nop 0
	v_pk_mov_b32 v[16:17], v[8:9], v[16:17] op_sel:[1,0]
	s_nop 0
	v_pk_mul_f32 v[4:5], v[4:5], v[16:17] op_sel_hi:[0,1]
	v_pk_fma_f32 v[4:5], v[8:9], v[26:27], v[4:5] op_sel_hi:[1,0,1] neg_lo:[1,0,0] neg_hi:[1,0,0]
	v_pk_add_f32 v[8:9], v[20:21], 0 neg_lo:[1,1] neg_hi:[1,1]
	s_nop 0
	v_pk_mov_b32 v[8:9], v[20:21], v[8:9] op_sel:[1,0]
	s_nop 0
	v_pk_mul_f32 v[8:9], v[10:11], v[8:9] op_sel_hi:[0,1]
	v_pk_fma_f32 v[8:9], v[20:21], v[30:31], v[8:9] op_sel_hi:[1,0,1] neg_lo:[1,0,0] neg_hi:[1,0,0]
	ds_write_b64 v6, v[12:13]
	ds_write_b64 v1, v[14:15] offset:2048
	ds_write_b64 v1, v[4:5]
	ds_write_b64 v7, v[8:9]
	v_sub_u32_e64 v4, v0, 16 clamp
	v_lshlrev_b32_e32 v16, 3, v4
	s_waitcnt lgkmcnt(0)
	; wave barrier
	ds_read2st64_b64 v[8:11], v16 offset1:1
	v_add_u32_e32 v4, 16, v0
	v_min_i32_e32 v15, s0, v4
	ds_read_b64 v[4:5], v1
	v_lshlrev_b32_e32 v20, 3, v15
	s_waitcnt lgkmcnt(1)
	v_mul_f32_e32 v12, v11, v11
	v_fmac_f32_e32 v12, v10, v10
	v_div_scale_f32 v13, s[6:7], v12, v12, 1.0
	v_rcp_f32_e32 v14, v13
	s_nop 0
	v_fma_f32 v17, -v13, v14, 1.0
	v_fmac_f32_e32 v14, v17, v14
	v_div_scale_f32 v17, vcc, 1.0, v12, 1.0
	v_mul_f32_e32 v18, v17, v14
	v_fma_f32 v19, -v13, v18, v17
	v_fmac_f32_e32 v18, v19, v14
	v_fma_f32 v13, -v13, v18, v17
	v_div_fmas_f32 v13, v13, v14, v18
	v_div_fixup_f32 v17, v13, v12, 1.0
	ds_read2st64_b64 v[12:15], v20 offset1:1
	ds_read_b64 v[24:25], v1 offset:2048
	s_waitcnt lgkmcnt(2)
	v_mul_f32_e32 v18, v11, v5
	v_fmac_f32_e32 v18, v4, v10
	v_mul_f32_e32 v26, v17, v18
	s_waitcnt lgkmcnt(1)
	v_mul_f32_e32 v18, v15, v15
	v_fmac_f32_e32 v18, v14, v14
	v_div_scale_f32 v19, s[0:1], v18, v18, 1.0
	v_rcp_f32_e32 v21, v19
	v_mul_f32_e64 v4, v11, -v4
	v_fmac_f32_e32 v4, v5, v10
	ds_read_b64 v[10:11], v7
	ds_read_b64 v[28:29], v6
	v_fma_f32 v5, -v19, v21, 1.0
	v_fmac_f32_e32 v21, v5, v21
	v_div_scale_f32 v5, vcc, 1.0, v18, 1.0
	v_mul_f32_e32 v4, v4, v17
	v_mul_f32_e32 v17, v5, v21
	v_fma_f32 v22, -v19, v17, v5
	v_fmac_f32_e32 v17, v22, v21
	v_fma_f32 v5, -v19, v17, v5
	v_div_fmas_f32 v5, v5, v21, v17
	s_waitcnt lgkmcnt(1)
	v_mul_f32_e32 v17, v15, v11
	v_div_fixup_f32 v5, v5, v18, 1.0
	v_fmac_f32_e32 v17, v10, v14
	v_mul_f32_e32 v30, v5, v17
	ds_read2st64_b64 v[16:19], v16 offset0:2 offset1:4
	v_mul_f32_e64 v10, v15, -v10
	v_fmac_f32_e32 v10, v11, v14
	ds_read2st64_b64 v[20:23], v20 offset0:2 offset1:4
	v_mul_f32_e32 v10, v10, v5
	s_waitcnt lgkmcnt(1)
	v_xor_b32_e32 v14, 0x80000000, v17
	v_mov_b32_e32 v15, v16
	v_pk_mul_f32 v[14:15], v[4:5], v[14:15] op_sel_hi:[0,1]
	v_pk_fma_f32 v[14:15], v[16:17], v[26:27], v[14:15] op_sel_hi:[1,0,1]
	v_xor_b32_e32 v16, 0x80000000, v13
	v_mov_b32_e32 v17, v12
	v_pk_mul_f32 v[16:17], v[10:11], v[16:17] op_sel_hi:[0,1]
	v_pk_add_f32 v[14:15], v[28:29], v[14:15] neg_lo:[0,1] neg_hi:[0,1]
	v_pk_fma_f32 v[12:13], v[12:13], v[30:31], v[16:17] op_sel_hi:[1,0,1]
	s_waitcnt lgkmcnt(0)
	v_xor_b32_e32 v16, 0x80000000, v23
	v_pk_add_f32 v[12:13], v[14:15], v[12:13] neg_lo:[0,1] neg_hi:[0,1]
	v_xor_b32_e32 v14, 0x80000000, v19
	v_mov_b32_e32 v15, v18
	v_pk_mul_f32 v[14:15], v[4:5], v[14:15] op_sel_hi:[0,1]
	v_mov_b32_e32 v17, v22
	v_pk_fma_f32 v[14:15], v[18:19], v[26:27], v[14:15] op_sel_hi:[1,0,1]
	v_pk_mul_f32 v[16:17], v[10:11], v[16:17] op_sel_hi:[0,1]
	v_pk_add_f32 v[14:15], v[24:25], v[14:15] neg_lo:[0,1] neg_hi:[0,1]
	v_pk_fma_f32 v[16:17], v[22:23], v[30:31], v[16:17] op_sel_hi:[1,0,1]
	v_cmp_gt_u32_e32 vcc, 32, v0
	v_pk_add_f32 v[14:15], v[14:15], v[16:17] neg_lo:[0,1] neg_hi:[0,1]
	v_pk_add_f32 v[16:17], v[8:9], 0 neg_lo:[1,1] neg_hi:[1,1]
	s_nop 0
	v_pk_mov_b32 v[16:17], v[8:9], v[16:17] op_sel:[1,0]
	; wave barrier
	s_nop 0
	v_pk_mul_f32 v[4:5], v[4:5], v[16:17] op_sel_hi:[0,1]
	v_pk_fma_f32 v[4:5], v[8:9], v[26:27], v[4:5] op_sel_hi:[1,0,1] neg_lo:[1,0,0] neg_hi:[1,0,0]
	v_pk_add_f32 v[8:9], v[20:21], 0 neg_lo:[1,1] neg_hi:[1,1]
	s_nop 0
	v_pk_mov_b32 v[8:9], v[20:21], v[8:9] op_sel:[1,0]
	s_nop 0
	v_pk_mul_f32 v[8:9], v[10:11], v[8:9] op_sel_hi:[0,1]
	v_pk_fma_f32 v[8:9], v[20:21], v[30:31], v[8:9] op_sel_hi:[1,0,1] neg_lo:[1,0,0] neg_hi:[1,0,0]
	ds_write_b64 v6, v[12:13]
	ds_write_b64 v1, v[14:15] offset:2048
	ds_write_b64 v1, v[4:5]
	ds_write_b64 v7, v[8:9]
	s_waitcnt lgkmcnt(0)
	; wave barrier
	s_and_saveexec_b64 s[0:1], vcc
	s_cbranch_execz .LBB55_14
; %bb.9:
	v_or_b32_e32 v8, 32, v0
	v_or_b32_e32 v9, 0x800, v1
	v_cmp_le_i32_e32 vcc, s8, v8
                                        ; implicit-def: $vgpr4_vgpr5
	s_and_saveexec_b64 s[6:7], vcc
	s_xor_b64 s[6:7], exec, s[6:7]
	s_cbranch_execz .LBB55_11
; %bb.10:
	ds_read_b64 v[4:5], v6
	ds_read_b64 v[6:7], v9
	s_waitcnt lgkmcnt(1)
	v_mul_f32_e32 v10, v5, v5
	v_fmac_f32_e32 v10, v4, v4
	v_div_scale_f32 v11, s[8:9], v10, v10, 1.0
	v_rcp_f32_e32 v12, v11
	v_div_scale_f32 v13, vcc, 1.0, v10, 1.0
	s_waitcnt lgkmcnt(0)
	v_xor_b32_e32 v9, 0x80000000, v6
	v_fma_f32 v14, -v11, v12, 1.0
	v_fmac_f32_e32 v12, v14, v12
	v_mul_f32_e32 v14, v13, v12
	v_fma_f32 v15, -v11, v14, v13
	v_fmac_f32_e32 v14, v15, v12
	v_mov_b32_e32 v8, v7
	v_fma_f32 v11, -v11, v14, v13
	v_div_fmas_f32 v11, v11, v12, v14
	v_pk_mul_f32 v[8:9], v[4:5], v[8:9] op_sel:[1,0]
	v_div_fixup_f32 v10, v11, v10, 1.0
	v_pk_fma_f32 v[4:5], v[6:7], v[4:5], v[8:9] op_sel_hi:[1,0,1]
                                        ; implicit-def: $vgpr6
                                        ; implicit-def: $vgpr7
                                        ; implicit-def: $vgpr9
                                        ; implicit-def: $vgpr8
	s_nop 0
	v_pk_mul_f32 v[4:5], v[10:11], v[4:5] op_sel_hi:[0,1]
.LBB55_11:
	s_andn2_saveexec_b64 s[6:7], s[6:7]
	s_cbranch_execz .LBB55_13
; %bb.12:
	ds_read2_b64 v[10:13], v6 offset1:32
	ds_read_b64 v[4:5], v7
	ds_read_b32 v0, v9
	ds_read_b64 v[6:7], v9
	ds_read_b64 v[14:15], v1 offset:256
	s_waitcnt lgkmcnt(4)
	v_xor_b32_e32 v16, 0x80000000, v13
	s_waitcnt lgkmcnt(3)
	v_xor_b32_e32 v18, 0x80000000, v5
	v_mov_b32_e32 v17, v12
	v_mov_b32_e32 v19, v4
	v_pk_mul_f32 v[20:21], v[10:11], v[16:17] op_sel:[1,0]
	s_waitcnt lgkmcnt(0)
	v_pk_mul_f32 v[22:23], v[14:15], v[18:19] op_sel:[1,0]
	v_pk_fma_f32 v[20:21], v[12:13], v[10:11], v[20:21] op_sel_hi:[1,0,1]
	v_pk_fma_f32 v[22:23], v[4:5], v[14:15], v[22:23] op_sel_hi:[1,0,1]
	s_nop 0
	v_pk_add_f32 v[20:21], v[20:21], v[22:23] neg_lo:[0,1] neg_hi:[0,1]
	ds_read2_b32 v[22:23], v9 offset0:1 offset1:64
	ds_read_b32 v24, v9 offset:260
	v_mul_f32_e32 v25, v21, v21
	v_fmac_f32_e32 v25, v20, v20
	v_div_scale_f32 v26, s[8:9], v25, v25, 1.0
	v_rcp_f32_e32 v27, v26
	s_waitcnt lgkmcnt(1)
	v_pk_mul_f32 v[16:17], v[22:23], v[16:17] op_sel_hi:[0,1]
	v_pk_fma_f32 v[12:13], v[12:13], v[0:1], v[16:17] op_sel_hi:[1,0,1]
	v_mov_b32_e32 v0, v23
	v_fma_f32 v28, -v26, v27, 1.0
	v_fmac_f32_e32 v27, v28, v27
	v_div_scale_f32 v28, vcc, 1.0, v25, 1.0
	v_mul_f32_e32 v29, v28, v27
	v_fma_f32 v30, -v26, v29, v28
	v_fmac_f32_e32 v29, v30, v27
	v_fma_f32 v26, -v26, v29, v28
	v_div_fmas_f32 v26, v26, v27, v29
	v_div_fixup_f32 v25, v26, v25, 1.0
	s_waitcnt lgkmcnt(0)
	v_pk_mul_f32 v[18:19], v[24:25], v[18:19] op_sel_hi:[0,1]
	ds_read_b64 v[16:17], v9 offset:256
	v_pk_fma_f32 v[4:5], v[4:5], v[0:1], v[18:19] op_sel_hi:[1,0,1]
	v_fma_f32 v26, 0, v21, v20
	v_fma_f32 v20, v20, 0, -v21
	v_pk_add_f32 v[4:5], v[12:13], v[4:5] neg_lo:[0,1] neg_hi:[0,1]
	v_mul_f32_e32 v20, v20, v25
	v_xor_b32_e32 v12, 0x80000000, v5
	v_mov_b32_e32 v13, v4
	v_mul_f32_e32 v26, v26, v25
	v_pk_mul_f32 v[12:13], v[20:21], v[12:13] op_sel_hi:[0,1]
	v_pk_fma_f32 v[4:5], v[4:5], v[26:27], v[12:13] op_sel_hi:[1,0,1]
	ds_write_b64 v1, v[4:5] offset:1536
	s_waitcnt lgkmcnt(1)
	v_xor_b32_e32 v4, 0x80000000, v17
	v_mov_b32_e32 v5, v16
	v_pk_mul_f32 v[4:5], v[10:11], v[4:5] op_sel:[1,0]
	v_mov_b32_e32 v0, v8
	v_pk_fma_f32 v[4:5], v[16:17], v[10:11], v[4:5] op_sel_hi:[1,0,1]
	v_xor_b32_e32 v10, 0x80000000, v7
	v_mov_b32_e32 v11, v6
	v_pk_mul_f32 v[10:11], v[14:15], v[10:11] op_sel:[1,0]
	s_nop 0
	v_pk_fma_f32 v[6:7], v[6:7], v[14:15], v[10:11] op_sel_hi:[1,0,1]
	s_nop 0
	v_pk_add_f32 v[4:5], v[4:5], v[6:7] neg_lo:[0,1] neg_hi:[0,1]
	s_nop 0
	v_xor_b32_e32 v6, 0x80000000, v5
	v_mov_b32_e32 v7, v4
	v_pk_mul_f32 v[6:7], v[20:21], v[6:7] op_sel_hi:[0,1]
	v_pk_fma_f32 v[4:5], v[4:5], v[26:27], v[6:7] op_sel_hi:[1,0,1]
.LBB55_13:
	s_or_b64 exec, exec, s[6:7]
	v_lshlrev_b32_e32 v0, 3, v0
	ds_write_b64 v0, v[4:5] offset:1536
.LBB55_14:
	s_or_b64 exec, exec, s[0:1]
	s_waitcnt lgkmcnt(0)
	; wave barrier
	s_and_saveexec_b64 s[0:1], s[2:3]
	s_cbranch_execz .LBB55_16
; %bb.15:
	ds_read_b64 v[0:1], v1 offset:1536
	v_lshl_add_u64 v[2:3], v[2:3], 3, s[4:5]
	s_waitcnt lgkmcnt(0)
	global_store_dwordx2 v[2:3], v[0:1], off
.LBB55_16:
	s_endpgm
	.section	.rodata,"a",@progbits
	.p2align	6, 0x0
	.amdhsa_kernel _ZN9rocsparseL44gtsv_nopivot_strided_batch_pcr_shared_kernelILj64E21rocsparse_complex_numIfEEEviiiPKT0_S5_S5_PS3_
		.amdhsa_group_segment_fixed_size 2560
		.amdhsa_private_segment_fixed_size 0
		.amdhsa_kernarg_size 48
		.amdhsa_user_sgpr_count 2
		.amdhsa_user_sgpr_dispatch_ptr 0
		.amdhsa_user_sgpr_queue_ptr 0
		.amdhsa_user_sgpr_kernarg_segment_ptr 1
		.amdhsa_user_sgpr_dispatch_id 0
		.amdhsa_user_sgpr_kernarg_preload_length 0
		.amdhsa_user_sgpr_kernarg_preload_offset 0
		.amdhsa_user_sgpr_private_segment_size 0
		.amdhsa_uses_dynamic_stack 0
		.amdhsa_enable_private_segment 0
		.amdhsa_system_sgpr_workgroup_id_x 1
		.amdhsa_system_sgpr_workgroup_id_y 0
		.amdhsa_system_sgpr_workgroup_id_z 0
		.amdhsa_system_sgpr_workgroup_info 0
		.amdhsa_system_vgpr_workitem_id 0
		.amdhsa_next_free_vgpr 32
		.amdhsa_next_free_sgpr 10
		.amdhsa_accum_offset 32
		.amdhsa_reserve_vcc 1
		.amdhsa_float_round_mode_32 0
		.amdhsa_float_round_mode_16_64 0
		.amdhsa_float_denorm_mode_32 3
		.amdhsa_float_denorm_mode_16_64 3
		.amdhsa_dx10_clamp 1
		.amdhsa_ieee_mode 1
		.amdhsa_fp16_overflow 0
		.amdhsa_tg_split 0
		.amdhsa_exception_fp_ieee_invalid_op 0
		.amdhsa_exception_fp_denorm_src 0
		.amdhsa_exception_fp_ieee_div_zero 0
		.amdhsa_exception_fp_ieee_overflow 0
		.amdhsa_exception_fp_ieee_underflow 0
		.amdhsa_exception_fp_ieee_inexact 0
		.amdhsa_exception_int_div_zero 0
	.end_amdhsa_kernel
	.section	.text._ZN9rocsparseL44gtsv_nopivot_strided_batch_pcr_shared_kernelILj64E21rocsparse_complex_numIfEEEviiiPKT0_S5_S5_PS3_,"axG",@progbits,_ZN9rocsparseL44gtsv_nopivot_strided_batch_pcr_shared_kernelILj64E21rocsparse_complex_numIfEEEviiiPKT0_S5_S5_PS3_,comdat
.Lfunc_end55:
	.size	_ZN9rocsparseL44gtsv_nopivot_strided_batch_pcr_shared_kernelILj64E21rocsparse_complex_numIfEEEviiiPKT0_S5_S5_PS3_, .Lfunc_end55-_ZN9rocsparseL44gtsv_nopivot_strided_batch_pcr_shared_kernelILj64E21rocsparse_complex_numIfEEEviiiPKT0_S5_S5_PS3_
                                        ; -- End function
	.set _ZN9rocsparseL44gtsv_nopivot_strided_batch_pcr_shared_kernelILj64E21rocsparse_complex_numIfEEEviiiPKT0_S5_S5_PS3_.num_vgpr, 32
	.set _ZN9rocsparseL44gtsv_nopivot_strided_batch_pcr_shared_kernelILj64E21rocsparse_complex_numIfEEEviiiPKT0_S5_S5_PS3_.num_agpr, 0
	.set _ZN9rocsparseL44gtsv_nopivot_strided_batch_pcr_shared_kernelILj64E21rocsparse_complex_numIfEEEviiiPKT0_S5_S5_PS3_.numbered_sgpr, 10
	.set _ZN9rocsparseL44gtsv_nopivot_strided_batch_pcr_shared_kernelILj64E21rocsparse_complex_numIfEEEviiiPKT0_S5_S5_PS3_.num_named_barrier, 0
	.set _ZN9rocsparseL44gtsv_nopivot_strided_batch_pcr_shared_kernelILj64E21rocsparse_complex_numIfEEEviiiPKT0_S5_S5_PS3_.private_seg_size, 0
	.set _ZN9rocsparseL44gtsv_nopivot_strided_batch_pcr_shared_kernelILj64E21rocsparse_complex_numIfEEEviiiPKT0_S5_S5_PS3_.uses_vcc, 1
	.set _ZN9rocsparseL44gtsv_nopivot_strided_batch_pcr_shared_kernelILj64E21rocsparse_complex_numIfEEEviiiPKT0_S5_S5_PS3_.uses_flat_scratch, 0
	.set _ZN9rocsparseL44gtsv_nopivot_strided_batch_pcr_shared_kernelILj64E21rocsparse_complex_numIfEEEviiiPKT0_S5_S5_PS3_.has_dyn_sized_stack, 0
	.set _ZN9rocsparseL44gtsv_nopivot_strided_batch_pcr_shared_kernelILj64E21rocsparse_complex_numIfEEEviiiPKT0_S5_S5_PS3_.has_recursion, 0
	.set _ZN9rocsparseL44gtsv_nopivot_strided_batch_pcr_shared_kernelILj64E21rocsparse_complex_numIfEEEviiiPKT0_S5_S5_PS3_.has_indirect_call, 0
	.section	.AMDGPU.csdata,"",@progbits
; Kernel info:
; codeLenInByte = 3984
; TotalNumSgprs: 16
; NumVgprs: 32
; NumAgprs: 0
; TotalNumVgprs: 32
; ScratchSize: 0
; MemoryBound: 0
; FloatMode: 240
; IeeeMode: 1
; LDSByteSize: 2560 bytes/workgroup (compile time only)
; SGPRBlocks: 1
; VGPRBlocks: 3
; NumSGPRsForWavesPerEU: 16
; NumVGPRsForWavesPerEU: 32
; AccumOffset: 32
; Occupancy: 8
; WaveLimiterHint : 0
; COMPUTE_PGM_RSRC2:SCRATCH_EN: 0
; COMPUTE_PGM_RSRC2:USER_SGPR: 2
; COMPUTE_PGM_RSRC2:TRAP_HANDLER: 0
; COMPUTE_PGM_RSRC2:TGID_X_EN: 1
; COMPUTE_PGM_RSRC2:TGID_Y_EN: 0
; COMPUTE_PGM_RSRC2:TGID_Z_EN: 0
; COMPUTE_PGM_RSRC2:TIDIG_COMP_CNT: 0
; COMPUTE_PGM_RSRC3_GFX90A:ACCUM_OFFSET: 7
; COMPUTE_PGM_RSRC3_GFX90A:TG_SPLIT: 0
	.section	.text._ZN9rocsparseL44gtsv_nopivot_strided_batch_pcr_shared_kernelILj128E21rocsparse_complex_numIfEEEviiiPKT0_S5_S5_PS3_,"axG",@progbits,_ZN9rocsparseL44gtsv_nopivot_strided_batch_pcr_shared_kernelILj128E21rocsparse_complex_numIfEEEviiiPKT0_S5_S5_PS3_,comdat
	.globl	_ZN9rocsparseL44gtsv_nopivot_strided_batch_pcr_shared_kernelILj128E21rocsparse_complex_numIfEEEviiiPKT0_S5_S5_PS3_ ; -- Begin function _ZN9rocsparseL44gtsv_nopivot_strided_batch_pcr_shared_kernelILj128E21rocsparse_complex_numIfEEEviiiPKT0_S5_S5_PS3_
	.p2align	8
	.type	_ZN9rocsparseL44gtsv_nopivot_strided_batch_pcr_shared_kernelILj128E21rocsparse_complex_numIfEEEviiiPKT0_S5_S5_PS3_,@function
_ZN9rocsparseL44gtsv_nopivot_strided_batch_pcr_shared_kernelILj128E21rocsparse_complex_numIfEEEviiiPKT0_S5_S5_PS3_: ; @_ZN9rocsparseL44gtsv_nopivot_strided_batch_pcr_shared_kernelILj128E21rocsparse_complex_numIfEEEviiiPKT0_S5_S5_PS3_
; %bb.0:
	s_load_dword s3, s[0:1], 0x8
	s_load_dword s8, s[0:1], 0x0
	v_mov_b32_e32 v4, 0
	v_mov_b32_e32 v6, 0
	;; [unrolled: 1-line block ×3, first 2 shown]
	s_waitcnt lgkmcnt(0)
	s_mul_i32 s4, s3, s2
	v_add_u32_e32 v2, s4, v0
	v_cmp_gt_i32_e64 s[2:3], s8, v0
	v_ashrrev_i32_e32 v3, 31, v2
	s_and_saveexec_b64 s[4:5], s[2:3]
	s_cbranch_execz .LBB56_2
; %bb.1:
	s_load_dwordx2 s[6:7], s[0:1], 0x10
	s_waitcnt lgkmcnt(0)
	v_lshl_add_u64 v[6:7], v[2:3], 3, s[6:7]
	global_load_dwordx2 v[6:7], v[6:7], off
.LBB56_2:
	s_or_b64 exec, exec, s[4:5]
	v_lshlrev_b32_e32 v1, 3, v0
	v_mov_b32_e32 v5, 0
	s_waitcnt vmcnt(0)
	ds_write_b64 v1, v[6:7]
	s_and_saveexec_b64 s[4:5], s[2:3]
	s_cbranch_execz .LBB56_4
; %bb.3:
	s_load_dwordx2 s[6:7], s[0:1], 0x18
	s_waitcnt lgkmcnt(0)
	v_lshl_add_u64 v[4:5], v[2:3], 3, s[6:7]
	global_load_dwordx2 v[4:5], v[4:5], off
.LBB56_4:
	s_or_b64 exec, exec, s[4:5]
	s_load_dwordx2 s[4:5], s[0:1], 0x28
	s_waitcnt vmcnt(0)
	ds_write_b64 v1, v[4:5] offset:1024
	v_mov_b32_e32 v4, 0
	v_mov_b32_e32 v8, 0
	;; [unrolled: 1-line block ×3, first 2 shown]
	s_and_saveexec_b64 s[6:7], s[2:3]
	s_cbranch_execz .LBB56_6
; %bb.5:
	s_load_dwordx2 s[0:1], s[0:1], 0x20
	s_waitcnt lgkmcnt(0)
	v_lshl_add_u64 v[6:7], v[2:3], 3, s[0:1]
	global_load_dwordx2 v[8:9], v[6:7], off
.LBB56_6:
	s_or_b64 exec, exec, s[6:7]
	v_or_b32_e32 v6, 0x400, v1
	v_or_b32_e32 v7, 0x800, v1
	v_mov_b32_e32 v5, 0
	s_waitcnt vmcnt(0)
	ds_write_b64 v1, v[8:9] offset:2048
	s_and_saveexec_b64 s[0:1], s[2:3]
	s_cbranch_execz .LBB56_8
; %bb.7:
	s_waitcnt lgkmcnt(0)
	v_lshl_add_u64 v[4:5], v[2:3], 3, s[4:5]
	global_load_dwordx2 v[4:5], v[4:5], off
.LBB56_8:
	s_or_b64 exec, exec, s[0:1]
	s_waitcnt vmcnt(0)
	ds_write_b64 v1, v[4:5] offset:4096
	v_sub_u32_e64 v4, v0, 1 clamp
	v_lshlrev_b32_e32 v16, 3, v4
	s_waitcnt lgkmcnt(0)
	s_barrier
	ds_read2st64_b64 v[8:11], v16 offset1:2
	s_add_i32 s0, s8, -1
	v_add_u32_e32 v4, 1, v0
	v_min_i32_e32 v15, s0, v4
	ds_read_b64 v[4:5], v1
	s_waitcnt lgkmcnt(1)
	v_mul_f32_e32 v12, v11, v11
	v_fmac_f32_e32 v12, v10, v10
	v_div_scale_f32 v13, s[6:7], v12, v12, 1.0
	v_rcp_f32_e32 v14, v13
	v_lshlrev_b32_e32 v22, 3, v15
	v_fma_f32 v17, -v13, v14, 1.0
	v_fmac_f32_e32 v14, v17, v14
	v_div_scale_f32 v17, vcc, 1.0, v12, 1.0
	v_mul_f32_e32 v18, v17, v14
	v_fma_f32 v19, -v13, v18, v17
	v_fmac_f32_e32 v18, v19, v14
	v_fma_f32 v13, -v13, v18, v17
	v_div_fmas_f32 v13, v13, v14, v18
	v_div_fixup_f32 v17, v13, v12, 1.0
	ds_read2st64_b64 v[12:15], v22 offset1:2
	ds_read_b64 v[20:21], v7
	ds_read_b64 v[24:25], v6
	ds_read_b64 v[26:27], v1 offset:4096
	s_waitcnt lgkmcnt(4)
	v_mul_f32_e32 v18, v11, v5
	v_fmac_f32_e32 v18, v4, v10
	v_mul_f32_e32 v28, v17, v18
	s_waitcnt lgkmcnt(3)
	v_mul_f32_e32 v18, v15, v15
	v_fmac_f32_e32 v18, v14, v14
	v_div_scale_f32 v19, s[6:7], v18, v18, 1.0
	v_rcp_f32_e32 v23, v19
	v_mul_f32_e64 v4, v11, -v4
	v_fmac_f32_e32 v4, v5, v10
	v_mul_f32_e32 v4, v4, v17
	v_fma_f32 v5, -v19, v23, 1.0
	v_fmac_f32_e32 v23, v5, v23
	v_div_scale_f32 v5, vcc, 1.0, v18, 1.0
	v_mul_f32_e32 v10, v5, v23
	v_fma_f32 v11, -v19, v10, v5
	v_fmac_f32_e32 v10, v11, v23
	v_fma_f32 v5, -v19, v10, v5
	v_div_fmas_f32 v5, v5, v23, v10
	v_div_fixup_f32 v5, v5, v18, 1.0
	ds_read2st64_b64 v[16:19], v16 offset0:4 offset1:8
	s_waitcnt lgkmcnt(3)
	v_mul_f32_e64 v11, v15, -v20
	v_mul_f32_e32 v10, v15, v21
	v_fmac_f32_e32 v11, v21, v14
	v_fmac_f32_e32 v10, v20, v14
	s_waitcnt lgkmcnt(0)
	v_xor_b32_e32 v30, 0x80000000, v17
	v_mov_b32_e32 v31, v16
	v_pk_mul_f32 v[30:31], v[4:5], v[30:31] op_sel_hi:[0,1]
	v_pk_fma_f32 v[16:17], v[16:17], v[28:29], v[30:31] op_sel_hi:[1,0,1]
	v_mul_f32_e32 v14, v11, v5
	ds_read2st64_b64 v[20:23], v22 offset0:4 offset1:8
	v_pk_add_f32 v[16:17], v[24:25], v[16:17] neg_lo:[0,1] neg_hi:[0,1]
	v_xor_b32_e32 v24, 0x80000000, v13
	v_mov_b32_e32 v25, v12
	v_mul_f32_e32 v10, v5, v10
	v_pk_mul_f32 v[24:25], v[14:15], v[24:25] op_sel_hi:[0,1]
	v_pk_fma_f32 v[12:13], v[12:13], v[10:11], v[24:25] op_sel_hi:[1,0,1]
	s_waitcnt lgkmcnt(0)
	v_pk_add_f32 v[12:13], v[16:17], v[12:13] neg_lo:[0,1] neg_hi:[0,1]
	v_xor_b32_e32 v16, 0x80000000, v19
	v_mov_b32_e32 v17, v18
	v_pk_mul_f32 v[16:17], v[4:5], v[16:17] op_sel_hi:[0,1]
	v_pk_fma_f32 v[16:17], v[18:19], v[28:29], v[16:17] op_sel_hi:[1,0,1]
	v_xor_b32_e32 v18, 0x80000000, v23
	v_mov_b32_e32 v19, v22
	v_pk_mul_f32 v[18:19], v[14:15], v[18:19] op_sel_hi:[0,1]
	v_pk_add_f32 v[16:17], v[26:27], v[16:17] neg_lo:[0,1] neg_hi:[0,1]
	v_pk_fma_f32 v[18:19], v[22:23], v[10:11], v[18:19] op_sel_hi:[1,0,1]
	s_barrier
	v_pk_add_f32 v[16:17], v[16:17], v[18:19] neg_lo:[0,1] neg_hi:[0,1]
	v_pk_add_f32 v[18:19], v[8:9], 0 neg_lo:[1,1] neg_hi:[1,1]
	s_nop 0
	v_pk_mov_b32 v[18:19], v[8:9], v[18:19] op_sel:[1,0]
	s_nop 0
	v_pk_mul_f32 v[4:5], v[4:5], v[18:19] op_sel_hi:[0,1]
	v_pk_fma_f32 v[4:5], v[8:9], v[28:29], v[4:5] op_sel_hi:[1,0,1] neg_lo:[1,0,0] neg_hi:[1,0,0]
	v_pk_add_f32 v[8:9], v[20:21], 0 neg_lo:[1,1] neg_hi:[1,1]
	s_nop 0
	v_pk_mov_b32 v[8:9], v[20:21], v[8:9] op_sel:[1,0]
	s_nop 0
	v_pk_mul_f32 v[8:9], v[14:15], v[8:9] op_sel_hi:[0,1]
	v_pk_fma_f32 v[8:9], v[20:21], v[10:11], v[8:9] op_sel_hi:[1,0,1] neg_lo:[1,0,0] neg_hi:[1,0,0]
	ds_write_b64 v6, v[12:13]
	ds_write_b64 v1, v[16:17] offset:4096
	ds_write_b64 v1, v[4:5]
	ds_write_b64 v7, v[8:9]
	v_sub_u32_e64 v4, v0, 2 clamp
	v_lshlrev_b32_e32 v16, 3, v4
	s_waitcnt lgkmcnt(0)
	s_barrier
	ds_read2st64_b64 v[8:11], v16 offset1:2
	v_add_u32_e32 v4, 2, v0
	v_min_i32_e32 v15, s0, v4
	ds_read_b64 v[4:5], v1
	v_lshlrev_b32_e32 v22, 3, v15
	s_waitcnt lgkmcnt(1)
	v_mul_f32_e32 v12, v11, v11
	v_fmac_f32_e32 v12, v10, v10
	v_div_scale_f32 v13, s[6:7], v12, v12, 1.0
	v_rcp_f32_e32 v14, v13
	s_nop 0
	v_fma_f32 v17, -v13, v14, 1.0
	v_fmac_f32_e32 v14, v17, v14
	v_div_scale_f32 v17, vcc, 1.0, v12, 1.0
	v_mul_f32_e32 v18, v17, v14
	v_fma_f32 v19, -v13, v18, v17
	v_fmac_f32_e32 v18, v19, v14
	v_fma_f32 v13, -v13, v18, v17
	v_div_fmas_f32 v13, v13, v14, v18
	v_div_fixup_f32 v17, v13, v12, 1.0
	ds_read2st64_b64 v[12:15], v22 offset1:2
	ds_read_b64 v[20:21], v7
	ds_read_b64 v[24:25], v6
	ds_read_b64 v[26:27], v1 offset:4096
	s_waitcnt lgkmcnt(4)
	v_mul_f32_e32 v18, v11, v5
	v_fmac_f32_e32 v18, v4, v10
	v_mul_f32_e32 v28, v17, v18
	s_waitcnt lgkmcnt(3)
	v_mul_f32_e32 v18, v15, v15
	v_fmac_f32_e32 v18, v14, v14
	v_div_scale_f32 v19, s[6:7], v18, v18, 1.0
	v_rcp_f32_e32 v23, v19
	v_mul_f32_e64 v4, v11, -v4
	v_fmac_f32_e32 v4, v5, v10
	v_mul_f32_e32 v4, v4, v17
	v_fma_f32 v5, -v19, v23, 1.0
	v_fmac_f32_e32 v23, v5, v23
	v_div_scale_f32 v5, vcc, 1.0, v18, 1.0
	v_mul_f32_e32 v10, v5, v23
	v_fma_f32 v11, -v19, v10, v5
	v_fmac_f32_e32 v10, v11, v23
	v_fma_f32 v5, -v19, v10, v5
	v_div_fmas_f32 v5, v5, v23, v10
	v_div_fixup_f32 v5, v5, v18, 1.0
	ds_read2st64_b64 v[16:19], v16 offset0:4 offset1:8
	s_waitcnt lgkmcnt(3)
	v_mul_f32_e64 v11, v15, -v20
	v_mul_f32_e32 v10, v15, v21
	v_fmac_f32_e32 v11, v21, v14
	v_fmac_f32_e32 v10, v20, v14
	s_waitcnt lgkmcnt(0)
	v_xor_b32_e32 v30, 0x80000000, v17
	v_mov_b32_e32 v31, v16
	v_pk_mul_f32 v[30:31], v[4:5], v[30:31] op_sel_hi:[0,1]
	v_pk_fma_f32 v[16:17], v[16:17], v[28:29], v[30:31] op_sel_hi:[1,0,1]
	v_mul_f32_e32 v14, v11, v5
	ds_read2st64_b64 v[20:23], v22 offset0:4 offset1:8
	v_pk_add_f32 v[16:17], v[24:25], v[16:17] neg_lo:[0,1] neg_hi:[0,1]
	v_xor_b32_e32 v24, 0x80000000, v13
	v_mov_b32_e32 v25, v12
	v_mul_f32_e32 v10, v5, v10
	v_pk_mul_f32 v[24:25], v[14:15], v[24:25] op_sel_hi:[0,1]
	v_pk_fma_f32 v[12:13], v[12:13], v[10:11], v[24:25] op_sel_hi:[1,0,1]
	s_waitcnt lgkmcnt(0)
	v_pk_add_f32 v[12:13], v[16:17], v[12:13] neg_lo:[0,1] neg_hi:[0,1]
	v_xor_b32_e32 v16, 0x80000000, v19
	v_mov_b32_e32 v17, v18
	v_pk_mul_f32 v[16:17], v[4:5], v[16:17] op_sel_hi:[0,1]
	v_pk_fma_f32 v[16:17], v[18:19], v[28:29], v[16:17] op_sel_hi:[1,0,1]
	v_xor_b32_e32 v18, 0x80000000, v23
	v_mov_b32_e32 v19, v22
	v_pk_mul_f32 v[18:19], v[14:15], v[18:19] op_sel_hi:[0,1]
	v_pk_add_f32 v[16:17], v[26:27], v[16:17] neg_lo:[0,1] neg_hi:[0,1]
	v_pk_fma_f32 v[18:19], v[22:23], v[10:11], v[18:19] op_sel_hi:[1,0,1]
	s_barrier
	v_pk_add_f32 v[16:17], v[16:17], v[18:19] neg_lo:[0,1] neg_hi:[0,1]
	v_pk_add_f32 v[18:19], v[8:9], 0 neg_lo:[1,1] neg_hi:[1,1]
	s_nop 0
	v_pk_mov_b32 v[18:19], v[8:9], v[18:19] op_sel:[1,0]
	s_nop 0
	v_pk_mul_f32 v[4:5], v[4:5], v[18:19] op_sel_hi:[0,1]
	v_pk_fma_f32 v[4:5], v[8:9], v[28:29], v[4:5] op_sel_hi:[1,0,1] neg_lo:[1,0,0] neg_hi:[1,0,0]
	v_pk_add_f32 v[8:9], v[20:21], 0 neg_lo:[1,1] neg_hi:[1,1]
	s_nop 0
	v_pk_mov_b32 v[8:9], v[20:21], v[8:9] op_sel:[1,0]
	s_nop 0
	v_pk_mul_f32 v[8:9], v[14:15], v[8:9] op_sel_hi:[0,1]
	v_pk_fma_f32 v[8:9], v[20:21], v[10:11], v[8:9] op_sel_hi:[1,0,1] neg_lo:[1,0,0] neg_hi:[1,0,0]
	ds_write_b64 v6, v[12:13]
	ds_write_b64 v1, v[16:17] offset:4096
	ds_write_b64 v1, v[4:5]
	ds_write_b64 v7, v[8:9]
	v_sub_u32_e64 v4, v0, 4 clamp
	v_lshlrev_b32_e32 v16, 3, v4
	s_waitcnt lgkmcnt(0)
	s_barrier
	ds_read2st64_b64 v[8:11], v16 offset1:2
	v_add_u32_e32 v4, 4, v0
	v_min_i32_e32 v15, s0, v4
	ds_read_b64 v[4:5], v1
	v_lshlrev_b32_e32 v22, 3, v15
	s_waitcnt lgkmcnt(1)
	v_mul_f32_e32 v12, v11, v11
	v_fmac_f32_e32 v12, v10, v10
	v_div_scale_f32 v13, s[6:7], v12, v12, 1.0
	v_rcp_f32_e32 v14, v13
	s_nop 0
	v_fma_f32 v17, -v13, v14, 1.0
	v_fmac_f32_e32 v14, v17, v14
	v_div_scale_f32 v17, vcc, 1.0, v12, 1.0
	v_mul_f32_e32 v18, v17, v14
	v_fma_f32 v19, -v13, v18, v17
	v_fmac_f32_e32 v18, v19, v14
	v_fma_f32 v13, -v13, v18, v17
	v_div_fmas_f32 v13, v13, v14, v18
	v_div_fixup_f32 v17, v13, v12, 1.0
	ds_read2st64_b64 v[12:15], v22 offset1:2
	ds_read_b64 v[20:21], v7
	ds_read_b64 v[24:25], v6
	ds_read_b64 v[26:27], v1 offset:4096
	s_waitcnt lgkmcnt(4)
	v_mul_f32_e32 v18, v11, v5
	v_fmac_f32_e32 v18, v4, v10
	v_mul_f32_e32 v28, v17, v18
	s_waitcnt lgkmcnt(3)
	v_mul_f32_e32 v18, v15, v15
	v_fmac_f32_e32 v18, v14, v14
	v_div_scale_f32 v19, s[6:7], v18, v18, 1.0
	v_rcp_f32_e32 v23, v19
	v_mul_f32_e64 v4, v11, -v4
	v_fmac_f32_e32 v4, v5, v10
	v_mul_f32_e32 v4, v4, v17
	v_fma_f32 v5, -v19, v23, 1.0
	v_fmac_f32_e32 v23, v5, v23
	v_div_scale_f32 v5, vcc, 1.0, v18, 1.0
	v_mul_f32_e32 v10, v5, v23
	v_fma_f32 v11, -v19, v10, v5
	v_fmac_f32_e32 v10, v11, v23
	v_fma_f32 v5, -v19, v10, v5
	v_div_fmas_f32 v5, v5, v23, v10
	v_div_fixup_f32 v5, v5, v18, 1.0
	ds_read2st64_b64 v[16:19], v16 offset0:4 offset1:8
	s_waitcnt lgkmcnt(3)
	v_mul_f32_e64 v11, v15, -v20
	v_mul_f32_e32 v10, v15, v21
	v_fmac_f32_e32 v11, v21, v14
	v_fmac_f32_e32 v10, v20, v14
	s_waitcnt lgkmcnt(0)
	v_xor_b32_e32 v30, 0x80000000, v17
	v_mov_b32_e32 v31, v16
	v_pk_mul_f32 v[30:31], v[4:5], v[30:31] op_sel_hi:[0,1]
	v_pk_fma_f32 v[16:17], v[16:17], v[28:29], v[30:31] op_sel_hi:[1,0,1]
	v_mul_f32_e32 v14, v11, v5
	ds_read2st64_b64 v[20:23], v22 offset0:4 offset1:8
	v_pk_add_f32 v[16:17], v[24:25], v[16:17] neg_lo:[0,1] neg_hi:[0,1]
	v_xor_b32_e32 v24, 0x80000000, v13
	v_mov_b32_e32 v25, v12
	v_mul_f32_e32 v10, v5, v10
	v_pk_mul_f32 v[24:25], v[14:15], v[24:25] op_sel_hi:[0,1]
	v_pk_fma_f32 v[12:13], v[12:13], v[10:11], v[24:25] op_sel_hi:[1,0,1]
	s_waitcnt lgkmcnt(0)
	v_pk_add_f32 v[12:13], v[16:17], v[12:13] neg_lo:[0,1] neg_hi:[0,1]
	v_xor_b32_e32 v16, 0x80000000, v19
	v_mov_b32_e32 v17, v18
	v_pk_mul_f32 v[16:17], v[4:5], v[16:17] op_sel_hi:[0,1]
	v_pk_fma_f32 v[16:17], v[18:19], v[28:29], v[16:17] op_sel_hi:[1,0,1]
	v_xor_b32_e32 v18, 0x80000000, v23
	v_mov_b32_e32 v19, v22
	v_pk_mul_f32 v[18:19], v[14:15], v[18:19] op_sel_hi:[0,1]
	v_pk_add_f32 v[16:17], v[26:27], v[16:17] neg_lo:[0,1] neg_hi:[0,1]
	v_pk_fma_f32 v[18:19], v[22:23], v[10:11], v[18:19] op_sel_hi:[1,0,1]
	s_barrier
	v_pk_add_f32 v[16:17], v[16:17], v[18:19] neg_lo:[0,1] neg_hi:[0,1]
	v_pk_add_f32 v[18:19], v[8:9], 0 neg_lo:[1,1] neg_hi:[1,1]
	s_nop 0
	v_pk_mov_b32 v[18:19], v[8:9], v[18:19] op_sel:[1,0]
	s_nop 0
	v_pk_mul_f32 v[4:5], v[4:5], v[18:19] op_sel_hi:[0,1]
	v_pk_fma_f32 v[4:5], v[8:9], v[28:29], v[4:5] op_sel_hi:[1,0,1] neg_lo:[1,0,0] neg_hi:[1,0,0]
	v_pk_add_f32 v[8:9], v[20:21], 0 neg_lo:[1,1] neg_hi:[1,1]
	s_nop 0
	v_pk_mov_b32 v[8:9], v[20:21], v[8:9] op_sel:[1,0]
	s_nop 0
	v_pk_mul_f32 v[8:9], v[14:15], v[8:9] op_sel_hi:[0,1]
	v_pk_fma_f32 v[8:9], v[20:21], v[10:11], v[8:9] op_sel_hi:[1,0,1] neg_lo:[1,0,0] neg_hi:[1,0,0]
	ds_write_b64 v6, v[12:13]
	ds_write_b64 v1, v[16:17] offset:4096
	ds_write_b64 v1, v[4:5]
	ds_write_b64 v7, v[8:9]
	v_sub_u32_e64 v4, v0, 8 clamp
	v_lshlrev_b32_e32 v16, 3, v4
	s_waitcnt lgkmcnt(0)
	s_barrier
	ds_read2st64_b64 v[8:11], v16 offset1:2
	v_add_u32_e32 v4, 8, v0
	v_min_i32_e32 v15, s0, v4
	ds_read_b64 v[4:5], v1
	v_lshlrev_b32_e32 v22, 3, v15
	s_waitcnt lgkmcnt(1)
	v_mul_f32_e32 v12, v11, v11
	v_fmac_f32_e32 v12, v10, v10
	v_div_scale_f32 v13, s[6:7], v12, v12, 1.0
	v_rcp_f32_e32 v14, v13
	s_nop 0
	v_fma_f32 v17, -v13, v14, 1.0
	v_fmac_f32_e32 v14, v17, v14
	v_div_scale_f32 v17, vcc, 1.0, v12, 1.0
	v_mul_f32_e32 v18, v17, v14
	v_fma_f32 v19, -v13, v18, v17
	v_fmac_f32_e32 v18, v19, v14
	v_fma_f32 v13, -v13, v18, v17
	v_div_fmas_f32 v13, v13, v14, v18
	v_div_fixup_f32 v17, v13, v12, 1.0
	ds_read2st64_b64 v[12:15], v22 offset1:2
	ds_read_b64 v[20:21], v7
	ds_read_b64 v[24:25], v6
	ds_read_b64 v[26:27], v1 offset:4096
	s_waitcnt lgkmcnt(4)
	v_mul_f32_e32 v18, v11, v5
	v_fmac_f32_e32 v18, v4, v10
	v_mul_f32_e32 v28, v17, v18
	s_waitcnt lgkmcnt(3)
	v_mul_f32_e32 v18, v15, v15
	v_fmac_f32_e32 v18, v14, v14
	v_div_scale_f32 v19, s[6:7], v18, v18, 1.0
	v_rcp_f32_e32 v23, v19
	v_mul_f32_e64 v4, v11, -v4
	v_fmac_f32_e32 v4, v5, v10
	v_mul_f32_e32 v4, v4, v17
	v_fma_f32 v5, -v19, v23, 1.0
	v_fmac_f32_e32 v23, v5, v23
	v_div_scale_f32 v5, vcc, 1.0, v18, 1.0
	v_mul_f32_e32 v10, v5, v23
	v_fma_f32 v11, -v19, v10, v5
	v_fmac_f32_e32 v10, v11, v23
	v_fma_f32 v5, -v19, v10, v5
	v_div_fmas_f32 v5, v5, v23, v10
	v_div_fixup_f32 v5, v5, v18, 1.0
	ds_read2st64_b64 v[16:19], v16 offset0:4 offset1:8
	s_waitcnt lgkmcnt(3)
	v_mul_f32_e64 v11, v15, -v20
	v_mul_f32_e32 v10, v15, v21
	v_fmac_f32_e32 v11, v21, v14
	v_fmac_f32_e32 v10, v20, v14
	s_waitcnt lgkmcnt(0)
	v_xor_b32_e32 v30, 0x80000000, v17
	v_mov_b32_e32 v31, v16
	v_pk_mul_f32 v[30:31], v[4:5], v[30:31] op_sel_hi:[0,1]
	v_pk_fma_f32 v[16:17], v[16:17], v[28:29], v[30:31] op_sel_hi:[1,0,1]
	v_mul_f32_e32 v14, v11, v5
	ds_read2st64_b64 v[20:23], v22 offset0:4 offset1:8
	v_pk_add_f32 v[16:17], v[24:25], v[16:17] neg_lo:[0,1] neg_hi:[0,1]
	v_xor_b32_e32 v24, 0x80000000, v13
	v_mov_b32_e32 v25, v12
	v_mul_f32_e32 v10, v5, v10
	v_pk_mul_f32 v[24:25], v[14:15], v[24:25] op_sel_hi:[0,1]
	v_pk_fma_f32 v[12:13], v[12:13], v[10:11], v[24:25] op_sel_hi:[1,0,1]
	s_waitcnt lgkmcnt(0)
	v_pk_add_f32 v[12:13], v[16:17], v[12:13] neg_lo:[0,1] neg_hi:[0,1]
	v_xor_b32_e32 v16, 0x80000000, v19
	v_mov_b32_e32 v17, v18
	v_pk_mul_f32 v[16:17], v[4:5], v[16:17] op_sel_hi:[0,1]
	v_pk_fma_f32 v[16:17], v[18:19], v[28:29], v[16:17] op_sel_hi:[1,0,1]
	v_xor_b32_e32 v18, 0x80000000, v23
	v_mov_b32_e32 v19, v22
	v_pk_mul_f32 v[18:19], v[14:15], v[18:19] op_sel_hi:[0,1]
	v_pk_add_f32 v[16:17], v[26:27], v[16:17] neg_lo:[0,1] neg_hi:[0,1]
	v_pk_fma_f32 v[18:19], v[22:23], v[10:11], v[18:19] op_sel_hi:[1,0,1]
	s_barrier
	v_pk_add_f32 v[16:17], v[16:17], v[18:19] neg_lo:[0,1] neg_hi:[0,1]
	v_pk_add_f32 v[18:19], v[8:9], 0 neg_lo:[1,1] neg_hi:[1,1]
	s_nop 0
	v_pk_mov_b32 v[18:19], v[8:9], v[18:19] op_sel:[1,0]
	s_nop 0
	v_pk_mul_f32 v[4:5], v[4:5], v[18:19] op_sel_hi:[0,1]
	v_pk_fma_f32 v[4:5], v[8:9], v[28:29], v[4:5] op_sel_hi:[1,0,1] neg_lo:[1,0,0] neg_hi:[1,0,0]
	v_pk_add_f32 v[8:9], v[20:21], 0 neg_lo:[1,1] neg_hi:[1,1]
	s_nop 0
	v_pk_mov_b32 v[8:9], v[20:21], v[8:9] op_sel:[1,0]
	s_nop 0
	v_pk_mul_f32 v[8:9], v[14:15], v[8:9] op_sel_hi:[0,1]
	v_pk_fma_f32 v[8:9], v[20:21], v[10:11], v[8:9] op_sel_hi:[1,0,1] neg_lo:[1,0,0] neg_hi:[1,0,0]
	ds_write_b64 v6, v[12:13]
	ds_write_b64 v1, v[16:17] offset:4096
	ds_write_b64 v1, v[4:5]
	ds_write_b64 v7, v[8:9]
	v_sub_u32_e64 v4, v0, 16 clamp
	v_lshlrev_b32_e32 v16, 3, v4
	s_waitcnt lgkmcnt(0)
	s_barrier
	ds_read2st64_b64 v[8:11], v16 offset1:2
	v_add_u32_e32 v4, 16, v0
	v_min_i32_e32 v15, s0, v4
	ds_read_b64 v[4:5], v1
	v_lshlrev_b32_e32 v22, 3, v15
	s_waitcnt lgkmcnt(1)
	v_mul_f32_e32 v12, v11, v11
	v_fmac_f32_e32 v12, v10, v10
	v_div_scale_f32 v13, s[6:7], v12, v12, 1.0
	v_rcp_f32_e32 v14, v13
	s_nop 0
	v_fma_f32 v17, -v13, v14, 1.0
	v_fmac_f32_e32 v14, v17, v14
	v_div_scale_f32 v17, vcc, 1.0, v12, 1.0
	v_mul_f32_e32 v18, v17, v14
	v_fma_f32 v19, -v13, v18, v17
	v_fmac_f32_e32 v18, v19, v14
	v_fma_f32 v13, -v13, v18, v17
	v_div_fmas_f32 v13, v13, v14, v18
	v_div_fixup_f32 v17, v13, v12, 1.0
	ds_read2st64_b64 v[12:15], v22 offset1:2
	ds_read_b64 v[20:21], v7
	ds_read_b64 v[24:25], v6
	ds_read_b64 v[26:27], v1 offset:4096
	s_waitcnt lgkmcnt(4)
	v_mul_f32_e32 v18, v11, v5
	v_fmac_f32_e32 v18, v4, v10
	v_mul_f32_e32 v28, v17, v18
	s_waitcnt lgkmcnt(3)
	v_mul_f32_e32 v18, v15, v15
	v_fmac_f32_e32 v18, v14, v14
	v_div_scale_f32 v19, s[6:7], v18, v18, 1.0
	v_rcp_f32_e32 v23, v19
	v_mul_f32_e64 v4, v11, -v4
	v_fmac_f32_e32 v4, v5, v10
	v_mul_f32_e32 v4, v4, v17
	v_fma_f32 v5, -v19, v23, 1.0
	v_fmac_f32_e32 v23, v5, v23
	v_div_scale_f32 v5, vcc, 1.0, v18, 1.0
	v_mul_f32_e32 v10, v5, v23
	v_fma_f32 v11, -v19, v10, v5
	v_fmac_f32_e32 v10, v11, v23
	v_fma_f32 v5, -v19, v10, v5
	v_div_fmas_f32 v5, v5, v23, v10
	v_div_fixup_f32 v5, v5, v18, 1.0
	ds_read2st64_b64 v[16:19], v16 offset0:4 offset1:8
	s_waitcnt lgkmcnt(3)
	v_mul_f32_e64 v11, v15, -v20
	v_mul_f32_e32 v10, v15, v21
	v_fmac_f32_e32 v11, v21, v14
	v_fmac_f32_e32 v10, v20, v14
	s_waitcnt lgkmcnt(0)
	v_xor_b32_e32 v30, 0x80000000, v17
	v_mov_b32_e32 v31, v16
	v_pk_mul_f32 v[30:31], v[4:5], v[30:31] op_sel_hi:[0,1]
	v_pk_fma_f32 v[16:17], v[16:17], v[28:29], v[30:31] op_sel_hi:[1,0,1]
	v_mul_f32_e32 v14, v11, v5
	ds_read2st64_b64 v[20:23], v22 offset0:4 offset1:8
	v_pk_add_f32 v[16:17], v[24:25], v[16:17] neg_lo:[0,1] neg_hi:[0,1]
	v_xor_b32_e32 v24, 0x80000000, v13
	v_mov_b32_e32 v25, v12
	v_mul_f32_e32 v10, v5, v10
	v_pk_mul_f32 v[24:25], v[14:15], v[24:25] op_sel_hi:[0,1]
	v_pk_fma_f32 v[12:13], v[12:13], v[10:11], v[24:25] op_sel_hi:[1,0,1]
	s_waitcnt lgkmcnt(0)
	v_pk_add_f32 v[12:13], v[16:17], v[12:13] neg_lo:[0,1] neg_hi:[0,1]
	v_xor_b32_e32 v16, 0x80000000, v19
	v_mov_b32_e32 v17, v18
	v_pk_mul_f32 v[16:17], v[4:5], v[16:17] op_sel_hi:[0,1]
	v_pk_fma_f32 v[16:17], v[18:19], v[28:29], v[16:17] op_sel_hi:[1,0,1]
	v_xor_b32_e32 v18, 0x80000000, v23
	v_mov_b32_e32 v19, v22
	v_pk_mul_f32 v[18:19], v[14:15], v[18:19] op_sel_hi:[0,1]
	v_pk_add_f32 v[16:17], v[26:27], v[16:17] neg_lo:[0,1] neg_hi:[0,1]
	v_pk_fma_f32 v[18:19], v[22:23], v[10:11], v[18:19] op_sel_hi:[1,0,1]
	s_barrier
	v_pk_add_f32 v[16:17], v[16:17], v[18:19] neg_lo:[0,1] neg_hi:[0,1]
	v_pk_add_f32 v[18:19], v[8:9], 0 neg_lo:[1,1] neg_hi:[1,1]
	s_nop 0
	v_pk_mov_b32 v[18:19], v[8:9], v[18:19] op_sel:[1,0]
	s_nop 0
	v_pk_mul_f32 v[4:5], v[4:5], v[18:19] op_sel_hi:[0,1]
	v_pk_fma_f32 v[4:5], v[8:9], v[28:29], v[4:5] op_sel_hi:[1,0,1] neg_lo:[1,0,0] neg_hi:[1,0,0]
	v_pk_add_f32 v[8:9], v[20:21], 0 neg_lo:[1,1] neg_hi:[1,1]
	s_nop 0
	v_pk_mov_b32 v[8:9], v[20:21], v[8:9] op_sel:[1,0]
	s_nop 0
	v_pk_mul_f32 v[8:9], v[14:15], v[8:9] op_sel_hi:[0,1]
	v_pk_fma_f32 v[8:9], v[20:21], v[10:11], v[8:9] op_sel_hi:[1,0,1] neg_lo:[1,0,0] neg_hi:[1,0,0]
	ds_write_b64 v6, v[12:13]
	ds_write_b64 v1, v[16:17] offset:4096
	ds_write_b64 v1, v[4:5]
	ds_write_b64 v7, v[8:9]
	v_sub_u32_e64 v4, v0, 32 clamp
	v_lshlrev_b32_e32 v16, 3, v4
	s_waitcnt lgkmcnt(0)
	s_barrier
	ds_read2st64_b64 v[8:11], v16 offset1:2
	v_add_u32_e32 v4, 32, v0
	v_min_i32_e32 v15, s0, v4
	ds_read_b64 v[4:5], v1
	v_lshlrev_b32_e32 v22, 3, v15
	s_waitcnt lgkmcnt(1)
	v_mul_f32_e32 v12, v11, v11
	v_fmac_f32_e32 v12, v10, v10
	v_div_scale_f32 v13, s[6:7], v12, v12, 1.0
	v_rcp_f32_e32 v14, v13
	s_nop 0
	v_fma_f32 v17, -v13, v14, 1.0
	v_fmac_f32_e32 v14, v17, v14
	v_div_scale_f32 v17, vcc, 1.0, v12, 1.0
	v_mul_f32_e32 v18, v17, v14
	v_fma_f32 v19, -v13, v18, v17
	v_fmac_f32_e32 v18, v19, v14
	v_fma_f32 v13, -v13, v18, v17
	v_div_fmas_f32 v13, v13, v14, v18
	v_div_fixup_f32 v17, v13, v12, 1.0
	ds_read2st64_b64 v[12:15], v22 offset1:2
	ds_read_b64 v[20:21], v7
	ds_read_b64 v[24:25], v6
	ds_read_b64 v[26:27], v1 offset:4096
	s_waitcnt lgkmcnt(4)
	v_mul_f32_e32 v18, v11, v5
	v_fmac_f32_e32 v18, v4, v10
	v_mul_f32_e32 v28, v17, v18
	s_waitcnt lgkmcnt(3)
	v_mul_f32_e32 v18, v15, v15
	v_fmac_f32_e32 v18, v14, v14
	v_div_scale_f32 v19, s[0:1], v18, v18, 1.0
	v_rcp_f32_e32 v23, v19
	v_mul_f32_e64 v4, v11, -v4
	v_fmac_f32_e32 v4, v5, v10
	v_mul_f32_e32 v4, v4, v17
	v_fma_f32 v5, -v19, v23, 1.0
	v_fmac_f32_e32 v23, v5, v23
	v_div_scale_f32 v5, vcc, 1.0, v18, 1.0
	v_mul_f32_e32 v10, v5, v23
	v_fma_f32 v11, -v19, v10, v5
	v_fmac_f32_e32 v10, v11, v23
	v_fma_f32 v5, -v19, v10, v5
	v_div_fmas_f32 v5, v5, v23, v10
	v_div_fixup_f32 v5, v5, v18, 1.0
	ds_read2st64_b64 v[16:19], v16 offset0:4 offset1:8
	s_waitcnt lgkmcnt(3)
	v_mul_f32_e64 v11, v15, -v20
	v_mul_f32_e32 v10, v15, v21
	v_fmac_f32_e32 v11, v21, v14
	v_fmac_f32_e32 v10, v20, v14
	s_waitcnt lgkmcnt(0)
	v_xor_b32_e32 v30, 0x80000000, v17
	v_mov_b32_e32 v31, v16
	v_pk_mul_f32 v[30:31], v[4:5], v[30:31] op_sel_hi:[0,1]
	v_pk_fma_f32 v[16:17], v[16:17], v[28:29], v[30:31] op_sel_hi:[1,0,1]
	v_mul_f32_e32 v14, v11, v5
	ds_read2st64_b64 v[20:23], v22 offset0:4 offset1:8
	v_pk_add_f32 v[16:17], v[24:25], v[16:17] neg_lo:[0,1] neg_hi:[0,1]
	v_xor_b32_e32 v24, 0x80000000, v13
	v_mov_b32_e32 v25, v12
	v_mul_f32_e32 v10, v5, v10
	v_pk_mul_f32 v[24:25], v[14:15], v[24:25] op_sel_hi:[0,1]
	v_pk_fma_f32 v[12:13], v[12:13], v[10:11], v[24:25] op_sel_hi:[1,0,1]
	v_cmp_gt_u32_e32 vcc, 64, v0
	v_pk_add_f32 v[12:13], v[16:17], v[12:13] neg_lo:[0,1] neg_hi:[0,1]
	v_xor_b32_e32 v16, 0x80000000, v19
	v_mov_b32_e32 v17, v18
	v_pk_mul_f32 v[16:17], v[4:5], v[16:17] op_sel_hi:[0,1]
	v_pk_fma_f32 v[16:17], v[18:19], v[28:29], v[16:17] op_sel_hi:[1,0,1]
	s_waitcnt lgkmcnt(0)
	v_xor_b32_e32 v18, 0x80000000, v23
	v_mov_b32_e32 v19, v22
	v_pk_mul_f32 v[18:19], v[14:15], v[18:19] op_sel_hi:[0,1]
	v_pk_add_f32 v[16:17], v[26:27], v[16:17] neg_lo:[0,1] neg_hi:[0,1]
	v_pk_fma_f32 v[18:19], v[22:23], v[10:11], v[18:19] op_sel_hi:[1,0,1]
	s_nop 0
	v_pk_add_f32 v[16:17], v[16:17], v[18:19] neg_lo:[0,1] neg_hi:[0,1]
	v_pk_add_f32 v[18:19], v[8:9], 0 neg_lo:[1,1] neg_hi:[1,1]
	s_barrier
	v_pk_mov_b32 v[18:19], v[8:9], v[18:19] op_sel:[1,0]
	s_nop 0
	v_pk_mul_f32 v[4:5], v[4:5], v[18:19] op_sel_hi:[0,1]
	v_pk_fma_f32 v[4:5], v[8:9], v[28:29], v[4:5] op_sel_hi:[1,0,1] neg_lo:[1,0,0] neg_hi:[1,0,0]
	v_pk_add_f32 v[8:9], v[20:21], 0 neg_lo:[1,1] neg_hi:[1,1]
	s_nop 0
	v_pk_mov_b32 v[8:9], v[20:21], v[8:9] op_sel:[1,0]
	s_nop 0
	v_pk_mul_f32 v[8:9], v[14:15], v[8:9] op_sel_hi:[0,1]
	v_pk_fma_f32 v[8:9], v[20:21], v[10:11], v[8:9] op_sel_hi:[1,0,1] neg_lo:[1,0,0] neg_hi:[1,0,0]
	ds_write_b64 v6, v[12:13]
	ds_write_b64 v1, v[16:17] offset:4096
	ds_write_b64 v1, v[4:5]
	ds_write_b64 v7, v[8:9]
	s_waitcnt lgkmcnt(0)
	s_barrier
	s_and_saveexec_b64 s[0:1], vcc
	s_cbranch_execz .LBB56_14
; %bb.9:
	v_or_b32_e32 v8, 64, v0
	v_or_b32_e32 v9, 0x1000, v1
	v_cmp_le_i32_e32 vcc, s8, v8
                                        ; implicit-def: $vgpr4_vgpr5
	s_and_saveexec_b64 s[6:7], vcc
	s_xor_b64 s[6:7], exec, s[6:7]
	s_cbranch_execz .LBB56_11
; %bb.10:
	ds_read_b64 v[4:5], v6
	ds_read_b64 v[6:7], v9
	s_waitcnt lgkmcnt(1)
	v_mul_f32_e32 v10, v5, v5
	v_fmac_f32_e32 v10, v4, v4
	v_div_scale_f32 v11, s[8:9], v10, v10, 1.0
	v_rcp_f32_e32 v12, v11
	v_div_scale_f32 v13, vcc, 1.0, v10, 1.0
	s_waitcnt lgkmcnt(0)
	v_xor_b32_e32 v9, 0x80000000, v6
	v_fma_f32 v14, -v11, v12, 1.0
	v_fmac_f32_e32 v12, v14, v12
	v_mul_f32_e32 v14, v13, v12
	v_fma_f32 v15, -v11, v14, v13
	v_fmac_f32_e32 v14, v15, v12
	v_mov_b32_e32 v8, v7
	v_fma_f32 v11, -v11, v14, v13
	v_div_fmas_f32 v11, v11, v12, v14
	v_pk_mul_f32 v[8:9], v[4:5], v[8:9] op_sel:[1,0]
	v_div_fixup_f32 v10, v11, v10, 1.0
	v_pk_fma_f32 v[4:5], v[6:7], v[4:5], v[8:9] op_sel_hi:[1,0,1]
                                        ; implicit-def: $vgpr6
                                        ; implicit-def: $vgpr7
                                        ; implicit-def: $vgpr9
                                        ; implicit-def: $vgpr8
	s_nop 0
	v_pk_mul_f32 v[4:5], v[10:11], v[4:5] op_sel_hi:[0,1]
.LBB56_11:
	s_andn2_saveexec_b64 s[6:7], s[6:7]
	s_cbranch_execz .LBB56_13
; %bb.12:
	ds_read2st64_b64 v[10:13], v6 offset1:1
	ds_read_b64 v[4:5], v7
	ds_read_b64 v[6:7], v1 offset:512
	ds_read_b32 v0, v9
	ds_read_b64 v[16:17], v9
	ds_read_b64 v[18:19], v9 offset:512
	s_waitcnt lgkmcnt(5)
	v_xor_b32_e32 v14, 0x80000000, v13
	s_waitcnt lgkmcnt(4)
	v_xor_b32_e32 v20, 0x80000000, v5
	v_mov_b32_e32 v15, v12
	v_mov_b32_e32 v21, v4
	v_pk_mul_f32 v[22:23], v[10:11], v[14:15] op_sel:[1,0]
	s_waitcnt lgkmcnt(3)
	v_pk_mul_f32 v[24:25], v[6:7], v[20:21] op_sel:[1,0]
	v_pk_fma_f32 v[22:23], v[12:13], v[10:11], v[22:23] op_sel_hi:[1,0,1]
	v_pk_fma_f32 v[24:25], v[4:5], v[6:7], v[24:25] op_sel_hi:[1,0,1]
	s_nop 0
	v_pk_add_f32 v[22:23], v[22:23], v[24:25] neg_lo:[0,1] neg_hi:[0,1]
	ds_read2_b32 v[24:25], v9 offset0:1 offset1:128
	ds_read_b32 v26, v9 offset:516
	v_mul_f32_e32 v27, v23, v23
	v_fmac_f32_e32 v27, v22, v22
	v_div_scale_f32 v28, s[8:9], v27, v27, 1.0
	v_rcp_f32_e32 v29, v28
	s_waitcnt lgkmcnt(1)
	v_pk_mul_f32 v[14:15], v[24:25], v[14:15] op_sel_hi:[0,1]
	v_pk_fma_f32 v[12:13], v[12:13], v[0:1], v[14:15] op_sel_hi:[1,0,1]
	v_mov_b32_e32 v0, v25
	v_fma_f32 v9, -v28, v29, 1.0
	v_fmac_f32_e32 v29, v9, v29
	v_div_scale_f32 v9, vcc, 1.0, v27, 1.0
	v_mul_f32_e32 v30, v9, v29
	v_fma_f32 v31, -v28, v30, v9
	v_fmac_f32_e32 v30, v31, v29
	v_fma_f32 v9, -v28, v30, v9
	v_div_fmas_f32 v9, v9, v29, v30
	v_div_fixup_f32 v9, v9, v27, 1.0
	v_fma_f32 v27, 0, v23, v22
	s_waitcnt lgkmcnt(0)
	v_pk_mul_f32 v[14:15], v[26:27], v[20:21] op_sel_hi:[0,1]
	v_pk_fma_f32 v[4:5], v[4:5], v[0:1], v[14:15] op_sel_hi:[1,0,1]
	v_fma_f32 v22, v22, 0, -v23
	v_pk_add_f32 v[4:5], v[12:13], v[4:5] neg_lo:[0,1] neg_hi:[0,1]
	v_mul_f32_e32 v22, v22, v9
	v_xor_b32_e32 v12, 0x80000000, v5
	v_mov_b32_e32 v13, v4
	v_mul_f32_e32 v28, v27, v9
	v_pk_mul_f32 v[12:13], v[22:23], v[12:13] op_sel_hi:[0,1]
	v_pk_fma_f32 v[4:5], v[4:5], v[28:29], v[12:13] op_sel_hi:[1,0,1]
	ds_write_b64 v1, v[4:5] offset:3072
	v_xor_b32_e32 v4, 0x80000000, v19
	v_mov_b32_e32 v5, v18
	v_pk_mul_f32 v[4:5], v[10:11], v[4:5] op_sel:[1,0]
	v_mov_b32_e32 v0, v8
	v_pk_fma_f32 v[4:5], v[18:19], v[10:11], v[4:5] op_sel_hi:[1,0,1]
	v_xor_b32_e32 v10, 0x80000000, v17
	v_mov_b32_e32 v11, v16
	v_pk_mul_f32 v[10:11], v[6:7], v[10:11] op_sel:[1,0]
	s_nop 0
	v_pk_fma_f32 v[6:7], v[16:17], v[6:7], v[10:11] op_sel_hi:[1,0,1]
	s_nop 0
	v_pk_add_f32 v[4:5], v[4:5], v[6:7] neg_lo:[0,1] neg_hi:[0,1]
	s_nop 0
	v_xor_b32_e32 v6, 0x80000000, v5
	v_mov_b32_e32 v7, v4
	v_pk_mul_f32 v[6:7], v[22:23], v[6:7] op_sel_hi:[0,1]
	v_pk_fma_f32 v[4:5], v[4:5], v[28:29], v[6:7] op_sel_hi:[1,0,1]
.LBB56_13:
	s_or_b64 exec, exec, s[6:7]
	v_lshlrev_b32_e32 v0, 3, v0
	ds_write_b64 v0, v[4:5] offset:3072
.LBB56_14:
	s_or_b64 exec, exec, s[0:1]
	s_waitcnt lgkmcnt(0)
	s_barrier
	s_and_saveexec_b64 s[0:1], s[2:3]
	s_cbranch_execz .LBB56_16
; %bb.15:
	ds_read_b64 v[0:1], v1 offset:3072
	v_lshl_add_u64 v[2:3], v[2:3], 3, s[4:5]
	s_waitcnt lgkmcnt(0)
	global_store_dwordx2 v[2:3], v[0:1], off
.LBB56_16:
	s_endpgm
	.section	.rodata,"a",@progbits
	.p2align	6, 0x0
	.amdhsa_kernel _ZN9rocsparseL44gtsv_nopivot_strided_batch_pcr_shared_kernelILj128E21rocsparse_complex_numIfEEEviiiPKT0_S5_S5_PS3_
		.amdhsa_group_segment_fixed_size 5120
		.amdhsa_private_segment_fixed_size 0
		.amdhsa_kernarg_size 48
		.amdhsa_user_sgpr_count 2
		.amdhsa_user_sgpr_dispatch_ptr 0
		.amdhsa_user_sgpr_queue_ptr 0
		.amdhsa_user_sgpr_kernarg_segment_ptr 1
		.amdhsa_user_sgpr_dispatch_id 0
		.amdhsa_user_sgpr_kernarg_preload_length 0
		.amdhsa_user_sgpr_kernarg_preload_offset 0
		.amdhsa_user_sgpr_private_segment_size 0
		.amdhsa_uses_dynamic_stack 0
		.amdhsa_enable_private_segment 0
		.amdhsa_system_sgpr_workgroup_id_x 1
		.amdhsa_system_sgpr_workgroup_id_y 0
		.amdhsa_system_sgpr_workgroup_id_z 0
		.amdhsa_system_sgpr_workgroup_info 0
		.amdhsa_system_vgpr_workitem_id 0
		.amdhsa_next_free_vgpr 32
		.amdhsa_next_free_sgpr 10
		.amdhsa_accum_offset 32
		.amdhsa_reserve_vcc 1
		.amdhsa_float_round_mode_32 0
		.amdhsa_float_round_mode_16_64 0
		.amdhsa_float_denorm_mode_32 3
		.amdhsa_float_denorm_mode_16_64 3
		.amdhsa_dx10_clamp 1
		.amdhsa_ieee_mode 1
		.amdhsa_fp16_overflow 0
		.amdhsa_tg_split 0
		.amdhsa_exception_fp_ieee_invalid_op 0
		.amdhsa_exception_fp_denorm_src 0
		.amdhsa_exception_fp_ieee_div_zero 0
		.amdhsa_exception_fp_ieee_overflow 0
		.amdhsa_exception_fp_ieee_underflow 0
		.amdhsa_exception_fp_ieee_inexact 0
		.amdhsa_exception_int_div_zero 0
	.end_amdhsa_kernel
	.section	.text._ZN9rocsparseL44gtsv_nopivot_strided_batch_pcr_shared_kernelILj128E21rocsparse_complex_numIfEEEviiiPKT0_S5_S5_PS3_,"axG",@progbits,_ZN9rocsparseL44gtsv_nopivot_strided_batch_pcr_shared_kernelILj128E21rocsparse_complex_numIfEEEviiiPKT0_S5_S5_PS3_,comdat
.Lfunc_end56:
	.size	_ZN9rocsparseL44gtsv_nopivot_strided_batch_pcr_shared_kernelILj128E21rocsparse_complex_numIfEEEviiiPKT0_S5_S5_PS3_, .Lfunc_end56-_ZN9rocsparseL44gtsv_nopivot_strided_batch_pcr_shared_kernelILj128E21rocsparse_complex_numIfEEEviiiPKT0_S5_S5_PS3_
                                        ; -- End function
	.set _ZN9rocsparseL44gtsv_nopivot_strided_batch_pcr_shared_kernelILj128E21rocsparse_complex_numIfEEEviiiPKT0_S5_S5_PS3_.num_vgpr, 32
	.set _ZN9rocsparseL44gtsv_nopivot_strided_batch_pcr_shared_kernelILj128E21rocsparse_complex_numIfEEEviiiPKT0_S5_S5_PS3_.num_agpr, 0
	.set _ZN9rocsparseL44gtsv_nopivot_strided_batch_pcr_shared_kernelILj128E21rocsparse_complex_numIfEEEviiiPKT0_S5_S5_PS3_.numbered_sgpr, 10
	.set _ZN9rocsparseL44gtsv_nopivot_strided_batch_pcr_shared_kernelILj128E21rocsparse_complex_numIfEEEviiiPKT0_S5_S5_PS3_.num_named_barrier, 0
	.set _ZN9rocsparseL44gtsv_nopivot_strided_batch_pcr_shared_kernelILj128E21rocsparse_complex_numIfEEEviiiPKT0_S5_S5_PS3_.private_seg_size, 0
	.set _ZN9rocsparseL44gtsv_nopivot_strided_batch_pcr_shared_kernelILj128E21rocsparse_complex_numIfEEEviiiPKT0_S5_S5_PS3_.uses_vcc, 1
	.set _ZN9rocsparseL44gtsv_nopivot_strided_batch_pcr_shared_kernelILj128E21rocsparse_complex_numIfEEEviiiPKT0_S5_S5_PS3_.uses_flat_scratch, 0
	.set _ZN9rocsparseL44gtsv_nopivot_strided_batch_pcr_shared_kernelILj128E21rocsparse_complex_numIfEEEviiiPKT0_S5_S5_PS3_.has_dyn_sized_stack, 0
	.set _ZN9rocsparseL44gtsv_nopivot_strided_batch_pcr_shared_kernelILj128E21rocsparse_complex_numIfEEEviiiPKT0_S5_S5_PS3_.has_recursion, 0
	.set _ZN9rocsparseL44gtsv_nopivot_strided_batch_pcr_shared_kernelILj128E21rocsparse_complex_numIfEEEviiiPKT0_S5_S5_PS3_.has_indirect_call, 0
	.section	.AMDGPU.csdata,"",@progbits
; Kernel info:
; codeLenInByte = 4612
; TotalNumSgprs: 16
; NumVgprs: 32
; NumAgprs: 0
; TotalNumVgprs: 32
; ScratchSize: 0
; MemoryBound: 0
; FloatMode: 240
; IeeeMode: 1
; LDSByteSize: 5120 bytes/workgroup (compile time only)
; SGPRBlocks: 1
; VGPRBlocks: 3
; NumSGPRsForWavesPerEU: 16
; NumVGPRsForWavesPerEU: 32
; AccumOffset: 32
; Occupancy: 8
; WaveLimiterHint : 0
; COMPUTE_PGM_RSRC2:SCRATCH_EN: 0
; COMPUTE_PGM_RSRC2:USER_SGPR: 2
; COMPUTE_PGM_RSRC2:TRAP_HANDLER: 0
; COMPUTE_PGM_RSRC2:TGID_X_EN: 1
; COMPUTE_PGM_RSRC2:TGID_Y_EN: 0
; COMPUTE_PGM_RSRC2:TGID_Z_EN: 0
; COMPUTE_PGM_RSRC2:TIDIG_COMP_CNT: 0
; COMPUTE_PGM_RSRC3_GFX90A:ACCUM_OFFSET: 7
; COMPUTE_PGM_RSRC3_GFX90A:TG_SPLIT: 0
	.section	.text._ZN9rocsparseL44gtsv_nopivot_strided_batch_pcr_shared_kernelILj256E21rocsparse_complex_numIfEEEviiiPKT0_S5_S5_PS3_,"axG",@progbits,_ZN9rocsparseL44gtsv_nopivot_strided_batch_pcr_shared_kernelILj256E21rocsparse_complex_numIfEEEviiiPKT0_S5_S5_PS3_,comdat
	.globl	_ZN9rocsparseL44gtsv_nopivot_strided_batch_pcr_shared_kernelILj256E21rocsparse_complex_numIfEEEviiiPKT0_S5_S5_PS3_ ; -- Begin function _ZN9rocsparseL44gtsv_nopivot_strided_batch_pcr_shared_kernelILj256E21rocsparse_complex_numIfEEEviiiPKT0_S5_S5_PS3_
	.p2align	8
	.type	_ZN9rocsparseL44gtsv_nopivot_strided_batch_pcr_shared_kernelILj256E21rocsparse_complex_numIfEEEviiiPKT0_S5_S5_PS3_,@function
_ZN9rocsparseL44gtsv_nopivot_strided_batch_pcr_shared_kernelILj256E21rocsparse_complex_numIfEEEviiiPKT0_S5_S5_PS3_: ; @_ZN9rocsparseL44gtsv_nopivot_strided_batch_pcr_shared_kernelILj256E21rocsparse_complex_numIfEEEviiiPKT0_S5_S5_PS3_
; %bb.0:
	s_load_dword s3, s[0:1], 0x8
	s_load_dword s8, s[0:1], 0x0
	v_mov_b32_e32 v4, 0
	v_mov_b32_e32 v6, 0
	;; [unrolled: 1-line block ×3, first 2 shown]
	s_waitcnt lgkmcnt(0)
	s_mul_i32 s4, s3, s2
	v_add_u32_e32 v2, s4, v0
	v_cmp_gt_i32_e64 s[2:3], s8, v0
	v_ashrrev_i32_e32 v3, 31, v2
	s_and_saveexec_b64 s[4:5], s[2:3]
	s_cbranch_execz .LBB57_2
; %bb.1:
	s_load_dwordx2 s[6:7], s[0:1], 0x10
	s_waitcnt lgkmcnt(0)
	v_lshl_add_u64 v[6:7], v[2:3], 3, s[6:7]
	global_load_dwordx2 v[6:7], v[6:7], off
.LBB57_2:
	s_or_b64 exec, exec, s[4:5]
	v_lshlrev_b32_e32 v1, 3, v0
	v_mov_b32_e32 v5, 0
	s_waitcnt vmcnt(0)
	ds_write_b64 v1, v[6:7]
	s_and_saveexec_b64 s[4:5], s[2:3]
	s_cbranch_execz .LBB57_4
; %bb.3:
	s_load_dwordx2 s[6:7], s[0:1], 0x18
	s_waitcnt lgkmcnt(0)
	v_lshl_add_u64 v[4:5], v[2:3], 3, s[6:7]
	global_load_dwordx2 v[4:5], v[4:5], off
.LBB57_4:
	s_or_b64 exec, exec, s[4:5]
	s_load_dwordx2 s[4:5], s[0:1], 0x28
	s_waitcnt vmcnt(0)
	ds_write_b64 v1, v[4:5] offset:2048
	v_mov_b32_e32 v4, 0
	v_mov_b32_e32 v8, 0
	;; [unrolled: 1-line block ×3, first 2 shown]
	s_and_saveexec_b64 s[6:7], s[2:3]
	s_cbranch_execz .LBB57_6
; %bb.5:
	s_load_dwordx2 s[0:1], s[0:1], 0x20
	s_waitcnt lgkmcnt(0)
	v_lshl_add_u64 v[6:7], v[2:3], 3, s[0:1]
	global_load_dwordx2 v[8:9], v[6:7], off
.LBB57_6:
	s_or_b64 exec, exec, s[6:7]
	v_or_b32_e32 v6, 0x800, v1
	v_or_b32_e32 v7, 0x1000, v1
	v_mov_b32_e32 v5, 0
	s_waitcnt vmcnt(0)
	ds_write_b64 v1, v[8:9] offset:4096
	s_and_saveexec_b64 s[0:1], s[2:3]
	s_cbranch_execz .LBB57_8
; %bb.7:
	s_waitcnt lgkmcnt(0)
	v_lshl_add_u64 v[4:5], v[2:3], 3, s[4:5]
	global_load_dwordx2 v[4:5], v[4:5], off
.LBB57_8:
	s_or_b64 exec, exec, s[0:1]
	s_waitcnt vmcnt(0)
	ds_write_b64 v1, v[4:5] offset:8192
	v_sub_u32_e64 v4, v0, 1 clamp
	v_lshlrev_b32_e32 v16, 3, v4
	s_waitcnt lgkmcnt(0)
	s_barrier
	ds_read2st64_b64 v[8:11], v16 offset1:4
	s_add_i32 s0, s8, -1
	v_add_u32_e32 v4, 1, v0
	v_min_i32_e32 v15, s0, v4
	ds_read_b64 v[4:5], v1
	s_waitcnt lgkmcnt(1)
	v_mul_f32_e32 v12, v11, v11
	v_fmac_f32_e32 v12, v10, v10
	v_div_scale_f32 v13, s[6:7], v12, v12, 1.0
	v_rcp_f32_e32 v14, v13
	v_lshlrev_b32_e32 v22, 3, v15
	v_fma_f32 v17, -v13, v14, 1.0
	v_fmac_f32_e32 v14, v17, v14
	v_div_scale_f32 v17, vcc, 1.0, v12, 1.0
	v_mul_f32_e32 v18, v17, v14
	v_fma_f32 v19, -v13, v18, v17
	v_fmac_f32_e32 v18, v19, v14
	v_fma_f32 v13, -v13, v18, v17
	v_div_fmas_f32 v13, v13, v14, v18
	v_div_fixup_f32 v17, v13, v12, 1.0
	ds_read2st64_b64 v[12:15], v22 offset1:4
	ds_read_b64 v[20:21], v7
	ds_read_b64 v[24:25], v6
	ds_read_b64 v[26:27], v1 offset:8192
	s_waitcnt lgkmcnt(4)
	v_mul_f32_e32 v18, v11, v5
	v_fmac_f32_e32 v18, v4, v10
	v_mul_f32_e32 v28, v17, v18
	s_waitcnt lgkmcnt(3)
	v_mul_f32_e32 v18, v15, v15
	v_fmac_f32_e32 v18, v14, v14
	v_div_scale_f32 v19, s[6:7], v18, v18, 1.0
	v_rcp_f32_e32 v23, v19
	v_mul_f32_e64 v4, v11, -v4
	v_fmac_f32_e32 v4, v5, v10
	v_mul_f32_e32 v4, v4, v17
	v_fma_f32 v5, -v19, v23, 1.0
	v_fmac_f32_e32 v23, v5, v23
	v_div_scale_f32 v5, vcc, 1.0, v18, 1.0
	v_mul_f32_e32 v10, v5, v23
	v_fma_f32 v11, -v19, v10, v5
	v_fmac_f32_e32 v10, v11, v23
	v_fma_f32 v5, -v19, v10, v5
	v_div_fmas_f32 v5, v5, v23, v10
	v_div_fixup_f32 v5, v5, v18, 1.0
	ds_read2st64_b64 v[16:19], v16 offset0:8 offset1:16
	s_waitcnt lgkmcnt(3)
	v_mul_f32_e64 v11, v15, -v20
	v_mul_f32_e32 v10, v15, v21
	v_fmac_f32_e32 v11, v21, v14
	v_fmac_f32_e32 v10, v20, v14
	s_waitcnt lgkmcnt(0)
	v_xor_b32_e32 v30, 0x80000000, v17
	v_mov_b32_e32 v31, v16
	v_pk_mul_f32 v[30:31], v[4:5], v[30:31] op_sel_hi:[0,1]
	v_pk_fma_f32 v[16:17], v[16:17], v[28:29], v[30:31] op_sel_hi:[1,0,1]
	v_mul_f32_e32 v14, v11, v5
	ds_read2st64_b64 v[20:23], v22 offset0:8 offset1:16
	v_pk_add_f32 v[16:17], v[24:25], v[16:17] neg_lo:[0,1] neg_hi:[0,1]
	v_xor_b32_e32 v24, 0x80000000, v13
	v_mov_b32_e32 v25, v12
	v_mul_f32_e32 v10, v5, v10
	v_pk_mul_f32 v[24:25], v[14:15], v[24:25] op_sel_hi:[0,1]
	v_pk_fma_f32 v[12:13], v[12:13], v[10:11], v[24:25] op_sel_hi:[1,0,1]
	s_waitcnt lgkmcnt(0)
	v_pk_add_f32 v[12:13], v[16:17], v[12:13] neg_lo:[0,1] neg_hi:[0,1]
	v_xor_b32_e32 v16, 0x80000000, v19
	v_mov_b32_e32 v17, v18
	v_pk_mul_f32 v[16:17], v[4:5], v[16:17] op_sel_hi:[0,1]
	v_pk_fma_f32 v[16:17], v[18:19], v[28:29], v[16:17] op_sel_hi:[1,0,1]
	v_xor_b32_e32 v18, 0x80000000, v23
	v_mov_b32_e32 v19, v22
	v_pk_mul_f32 v[18:19], v[14:15], v[18:19] op_sel_hi:[0,1]
	v_pk_add_f32 v[16:17], v[26:27], v[16:17] neg_lo:[0,1] neg_hi:[0,1]
	v_pk_fma_f32 v[18:19], v[22:23], v[10:11], v[18:19] op_sel_hi:[1,0,1]
	s_barrier
	v_pk_add_f32 v[16:17], v[16:17], v[18:19] neg_lo:[0,1] neg_hi:[0,1]
	v_pk_add_f32 v[18:19], v[8:9], 0 neg_lo:[1,1] neg_hi:[1,1]
	s_nop 0
	v_pk_mov_b32 v[18:19], v[8:9], v[18:19] op_sel:[1,0]
	s_nop 0
	v_pk_mul_f32 v[4:5], v[4:5], v[18:19] op_sel_hi:[0,1]
	v_pk_fma_f32 v[4:5], v[8:9], v[28:29], v[4:5] op_sel_hi:[1,0,1] neg_lo:[1,0,0] neg_hi:[1,0,0]
	v_pk_add_f32 v[8:9], v[20:21], 0 neg_lo:[1,1] neg_hi:[1,1]
	s_nop 0
	v_pk_mov_b32 v[8:9], v[20:21], v[8:9] op_sel:[1,0]
	s_nop 0
	v_pk_mul_f32 v[8:9], v[14:15], v[8:9] op_sel_hi:[0,1]
	v_pk_fma_f32 v[8:9], v[20:21], v[10:11], v[8:9] op_sel_hi:[1,0,1] neg_lo:[1,0,0] neg_hi:[1,0,0]
	ds_write_b64 v6, v[12:13]
	ds_write_b64 v1, v[16:17] offset:8192
	ds_write_b64 v1, v[4:5]
	ds_write_b64 v7, v[8:9]
	v_sub_u32_e64 v4, v0, 2 clamp
	v_lshlrev_b32_e32 v16, 3, v4
	s_waitcnt lgkmcnt(0)
	s_barrier
	ds_read2st64_b64 v[8:11], v16 offset1:4
	v_add_u32_e32 v4, 2, v0
	v_min_i32_e32 v15, s0, v4
	ds_read_b64 v[4:5], v1
	v_lshlrev_b32_e32 v22, 3, v15
	s_waitcnt lgkmcnt(1)
	v_mul_f32_e32 v12, v11, v11
	v_fmac_f32_e32 v12, v10, v10
	v_div_scale_f32 v13, s[6:7], v12, v12, 1.0
	v_rcp_f32_e32 v14, v13
	s_nop 0
	v_fma_f32 v17, -v13, v14, 1.0
	v_fmac_f32_e32 v14, v17, v14
	v_div_scale_f32 v17, vcc, 1.0, v12, 1.0
	v_mul_f32_e32 v18, v17, v14
	v_fma_f32 v19, -v13, v18, v17
	v_fmac_f32_e32 v18, v19, v14
	v_fma_f32 v13, -v13, v18, v17
	v_div_fmas_f32 v13, v13, v14, v18
	v_div_fixup_f32 v17, v13, v12, 1.0
	ds_read2st64_b64 v[12:15], v22 offset1:4
	ds_read_b64 v[20:21], v7
	ds_read_b64 v[24:25], v6
	ds_read_b64 v[26:27], v1 offset:8192
	s_waitcnt lgkmcnt(4)
	v_mul_f32_e32 v18, v11, v5
	v_fmac_f32_e32 v18, v4, v10
	v_mul_f32_e32 v28, v17, v18
	s_waitcnt lgkmcnt(3)
	v_mul_f32_e32 v18, v15, v15
	v_fmac_f32_e32 v18, v14, v14
	v_div_scale_f32 v19, s[6:7], v18, v18, 1.0
	v_rcp_f32_e32 v23, v19
	v_mul_f32_e64 v4, v11, -v4
	v_fmac_f32_e32 v4, v5, v10
	v_mul_f32_e32 v4, v4, v17
	v_fma_f32 v5, -v19, v23, 1.0
	v_fmac_f32_e32 v23, v5, v23
	v_div_scale_f32 v5, vcc, 1.0, v18, 1.0
	v_mul_f32_e32 v10, v5, v23
	v_fma_f32 v11, -v19, v10, v5
	v_fmac_f32_e32 v10, v11, v23
	v_fma_f32 v5, -v19, v10, v5
	v_div_fmas_f32 v5, v5, v23, v10
	v_div_fixup_f32 v5, v5, v18, 1.0
	ds_read2st64_b64 v[16:19], v16 offset0:8 offset1:16
	s_waitcnt lgkmcnt(3)
	v_mul_f32_e64 v11, v15, -v20
	v_mul_f32_e32 v10, v15, v21
	v_fmac_f32_e32 v11, v21, v14
	v_fmac_f32_e32 v10, v20, v14
	s_waitcnt lgkmcnt(0)
	v_xor_b32_e32 v30, 0x80000000, v17
	v_mov_b32_e32 v31, v16
	v_pk_mul_f32 v[30:31], v[4:5], v[30:31] op_sel_hi:[0,1]
	v_pk_fma_f32 v[16:17], v[16:17], v[28:29], v[30:31] op_sel_hi:[1,0,1]
	v_mul_f32_e32 v14, v11, v5
	ds_read2st64_b64 v[20:23], v22 offset0:8 offset1:16
	v_pk_add_f32 v[16:17], v[24:25], v[16:17] neg_lo:[0,1] neg_hi:[0,1]
	v_xor_b32_e32 v24, 0x80000000, v13
	v_mov_b32_e32 v25, v12
	v_mul_f32_e32 v10, v5, v10
	v_pk_mul_f32 v[24:25], v[14:15], v[24:25] op_sel_hi:[0,1]
	v_pk_fma_f32 v[12:13], v[12:13], v[10:11], v[24:25] op_sel_hi:[1,0,1]
	s_waitcnt lgkmcnt(0)
	v_pk_add_f32 v[12:13], v[16:17], v[12:13] neg_lo:[0,1] neg_hi:[0,1]
	v_xor_b32_e32 v16, 0x80000000, v19
	v_mov_b32_e32 v17, v18
	v_pk_mul_f32 v[16:17], v[4:5], v[16:17] op_sel_hi:[0,1]
	v_pk_fma_f32 v[16:17], v[18:19], v[28:29], v[16:17] op_sel_hi:[1,0,1]
	v_xor_b32_e32 v18, 0x80000000, v23
	v_mov_b32_e32 v19, v22
	v_pk_mul_f32 v[18:19], v[14:15], v[18:19] op_sel_hi:[0,1]
	v_pk_add_f32 v[16:17], v[26:27], v[16:17] neg_lo:[0,1] neg_hi:[0,1]
	v_pk_fma_f32 v[18:19], v[22:23], v[10:11], v[18:19] op_sel_hi:[1,0,1]
	s_barrier
	v_pk_add_f32 v[16:17], v[16:17], v[18:19] neg_lo:[0,1] neg_hi:[0,1]
	v_pk_add_f32 v[18:19], v[8:9], 0 neg_lo:[1,1] neg_hi:[1,1]
	s_nop 0
	v_pk_mov_b32 v[18:19], v[8:9], v[18:19] op_sel:[1,0]
	s_nop 0
	v_pk_mul_f32 v[4:5], v[4:5], v[18:19] op_sel_hi:[0,1]
	v_pk_fma_f32 v[4:5], v[8:9], v[28:29], v[4:5] op_sel_hi:[1,0,1] neg_lo:[1,0,0] neg_hi:[1,0,0]
	v_pk_add_f32 v[8:9], v[20:21], 0 neg_lo:[1,1] neg_hi:[1,1]
	s_nop 0
	v_pk_mov_b32 v[8:9], v[20:21], v[8:9] op_sel:[1,0]
	s_nop 0
	v_pk_mul_f32 v[8:9], v[14:15], v[8:9] op_sel_hi:[0,1]
	v_pk_fma_f32 v[8:9], v[20:21], v[10:11], v[8:9] op_sel_hi:[1,0,1] neg_lo:[1,0,0] neg_hi:[1,0,0]
	ds_write_b64 v6, v[12:13]
	ds_write_b64 v1, v[16:17] offset:8192
	ds_write_b64 v1, v[4:5]
	ds_write_b64 v7, v[8:9]
	v_sub_u32_e64 v4, v0, 4 clamp
	v_lshlrev_b32_e32 v16, 3, v4
	s_waitcnt lgkmcnt(0)
	s_barrier
	ds_read2st64_b64 v[8:11], v16 offset1:4
	v_add_u32_e32 v4, 4, v0
	v_min_i32_e32 v15, s0, v4
	ds_read_b64 v[4:5], v1
	v_lshlrev_b32_e32 v22, 3, v15
	s_waitcnt lgkmcnt(1)
	v_mul_f32_e32 v12, v11, v11
	v_fmac_f32_e32 v12, v10, v10
	v_div_scale_f32 v13, s[6:7], v12, v12, 1.0
	v_rcp_f32_e32 v14, v13
	s_nop 0
	v_fma_f32 v17, -v13, v14, 1.0
	v_fmac_f32_e32 v14, v17, v14
	v_div_scale_f32 v17, vcc, 1.0, v12, 1.0
	v_mul_f32_e32 v18, v17, v14
	v_fma_f32 v19, -v13, v18, v17
	v_fmac_f32_e32 v18, v19, v14
	v_fma_f32 v13, -v13, v18, v17
	v_div_fmas_f32 v13, v13, v14, v18
	v_div_fixup_f32 v17, v13, v12, 1.0
	ds_read2st64_b64 v[12:15], v22 offset1:4
	ds_read_b64 v[20:21], v7
	ds_read_b64 v[24:25], v6
	ds_read_b64 v[26:27], v1 offset:8192
	s_waitcnt lgkmcnt(4)
	v_mul_f32_e32 v18, v11, v5
	v_fmac_f32_e32 v18, v4, v10
	v_mul_f32_e32 v28, v17, v18
	s_waitcnt lgkmcnt(3)
	v_mul_f32_e32 v18, v15, v15
	v_fmac_f32_e32 v18, v14, v14
	v_div_scale_f32 v19, s[6:7], v18, v18, 1.0
	v_rcp_f32_e32 v23, v19
	v_mul_f32_e64 v4, v11, -v4
	v_fmac_f32_e32 v4, v5, v10
	v_mul_f32_e32 v4, v4, v17
	v_fma_f32 v5, -v19, v23, 1.0
	v_fmac_f32_e32 v23, v5, v23
	v_div_scale_f32 v5, vcc, 1.0, v18, 1.0
	v_mul_f32_e32 v10, v5, v23
	v_fma_f32 v11, -v19, v10, v5
	v_fmac_f32_e32 v10, v11, v23
	v_fma_f32 v5, -v19, v10, v5
	v_div_fmas_f32 v5, v5, v23, v10
	v_div_fixup_f32 v5, v5, v18, 1.0
	ds_read2st64_b64 v[16:19], v16 offset0:8 offset1:16
	s_waitcnt lgkmcnt(3)
	v_mul_f32_e64 v11, v15, -v20
	v_mul_f32_e32 v10, v15, v21
	v_fmac_f32_e32 v11, v21, v14
	v_fmac_f32_e32 v10, v20, v14
	s_waitcnt lgkmcnt(0)
	v_xor_b32_e32 v30, 0x80000000, v17
	v_mov_b32_e32 v31, v16
	v_pk_mul_f32 v[30:31], v[4:5], v[30:31] op_sel_hi:[0,1]
	v_pk_fma_f32 v[16:17], v[16:17], v[28:29], v[30:31] op_sel_hi:[1,0,1]
	v_mul_f32_e32 v14, v11, v5
	ds_read2st64_b64 v[20:23], v22 offset0:8 offset1:16
	v_pk_add_f32 v[16:17], v[24:25], v[16:17] neg_lo:[0,1] neg_hi:[0,1]
	v_xor_b32_e32 v24, 0x80000000, v13
	v_mov_b32_e32 v25, v12
	v_mul_f32_e32 v10, v5, v10
	v_pk_mul_f32 v[24:25], v[14:15], v[24:25] op_sel_hi:[0,1]
	v_pk_fma_f32 v[12:13], v[12:13], v[10:11], v[24:25] op_sel_hi:[1,0,1]
	s_waitcnt lgkmcnt(0)
	v_pk_add_f32 v[12:13], v[16:17], v[12:13] neg_lo:[0,1] neg_hi:[0,1]
	v_xor_b32_e32 v16, 0x80000000, v19
	v_mov_b32_e32 v17, v18
	v_pk_mul_f32 v[16:17], v[4:5], v[16:17] op_sel_hi:[0,1]
	v_pk_fma_f32 v[16:17], v[18:19], v[28:29], v[16:17] op_sel_hi:[1,0,1]
	v_xor_b32_e32 v18, 0x80000000, v23
	v_mov_b32_e32 v19, v22
	v_pk_mul_f32 v[18:19], v[14:15], v[18:19] op_sel_hi:[0,1]
	v_pk_add_f32 v[16:17], v[26:27], v[16:17] neg_lo:[0,1] neg_hi:[0,1]
	v_pk_fma_f32 v[18:19], v[22:23], v[10:11], v[18:19] op_sel_hi:[1,0,1]
	s_barrier
	v_pk_add_f32 v[16:17], v[16:17], v[18:19] neg_lo:[0,1] neg_hi:[0,1]
	v_pk_add_f32 v[18:19], v[8:9], 0 neg_lo:[1,1] neg_hi:[1,1]
	s_nop 0
	v_pk_mov_b32 v[18:19], v[8:9], v[18:19] op_sel:[1,0]
	s_nop 0
	v_pk_mul_f32 v[4:5], v[4:5], v[18:19] op_sel_hi:[0,1]
	v_pk_fma_f32 v[4:5], v[8:9], v[28:29], v[4:5] op_sel_hi:[1,0,1] neg_lo:[1,0,0] neg_hi:[1,0,0]
	v_pk_add_f32 v[8:9], v[20:21], 0 neg_lo:[1,1] neg_hi:[1,1]
	s_nop 0
	v_pk_mov_b32 v[8:9], v[20:21], v[8:9] op_sel:[1,0]
	s_nop 0
	v_pk_mul_f32 v[8:9], v[14:15], v[8:9] op_sel_hi:[0,1]
	v_pk_fma_f32 v[8:9], v[20:21], v[10:11], v[8:9] op_sel_hi:[1,0,1] neg_lo:[1,0,0] neg_hi:[1,0,0]
	ds_write_b64 v6, v[12:13]
	ds_write_b64 v1, v[16:17] offset:8192
	ds_write_b64 v1, v[4:5]
	ds_write_b64 v7, v[8:9]
	v_sub_u32_e64 v4, v0, 8 clamp
	v_lshlrev_b32_e32 v16, 3, v4
	s_waitcnt lgkmcnt(0)
	s_barrier
	ds_read2st64_b64 v[8:11], v16 offset1:4
	v_add_u32_e32 v4, 8, v0
	v_min_i32_e32 v15, s0, v4
	ds_read_b64 v[4:5], v1
	v_lshlrev_b32_e32 v22, 3, v15
	s_waitcnt lgkmcnt(1)
	v_mul_f32_e32 v12, v11, v11
	v_fmac_f32_e32 v12, v10, v10
	v_div_scale_f32 v13, s[6:7], v12, v12, 1.0
	v_rcp_f32_e32 v14, v13
	s_nop 0
	v_fma_f32 v17, -v13, v14, 1.0
	v_fmac_f32_e32 v14, v17, v14
	v_div_scale_f32 v17, vcc, 1.0, v12, 1.0
	v_mul_f32_e32 v18, v17, v14
	v_fma_f32 v19, -v13, v18, v17
	v_fmac_f32_e32 v18, v19, v14
	v_fma_f32 v13, -v13, v18, v17
	v_div_fmas_f32 v13, v13, v14, v18
	v_div_fixup_f32 v17, v13, v12, 1.0
	ds_read2st64_b64 v[12:15], v22 offset1:4
	ds_read_b64 v[20:21], v7
	ds_read_b64 v[24:25], v6
	ds_read_b64 v[26:27], v1 offset:8192
	s_waitcnt lgkmcnt(4)
	v_mul_f32_e32 v18, v11, v5
	v_fmac_f32_e32 v18, v4, v10
	v_mul_f32_e32 v28, v17, v18
	s_waitcnt lgkmcnt(3)
	v_mul_f32_e32 v18, v15, v15
	v_fmac_f32_e32 v18, v14, v14
	v_div_scale_f32 v19, s[6:7], v18, v18, 1.0
	v_rcp_f32_e32 v23, v19
	v_mul_f32_e64 v4, v11, -v4
	v_fmac_f32_e32 v4, v5, v10
	v_mul_f32_e32 v4, v4, v17
	v_fma_f32 v5, -v19, v23, 1.0
	v_fmac_f32_e32 v23, v5, v23
	v_div_scale_f32 v5, vcc, 1.0, v18, 1.0
	v_mul_f32_e32 v10, v5, v23
	v_fma_f32 v11, -v19, v10, v5
	v_fmac_f32_e32 v10, v11, v23
	v_fma_f32 v5, -v19, v10, v5
	v_div_fmas_f32 v5, v5, v23, v10
	v_div_fixup_f32 v5, v5, v18, 1.0
	ds_read2st64_b64 v[16:19], v16 offset0:8 offset1:16
	s_waitcnt lgkmcnt(3)
	v_mul_f32_e64 v11, v15, -v20
	v_mul_f32_e32 v10, v15, v21
	v_fmac_f32_e32 v11, v21, v14
	v_fmac_f32_e32 v10, v20, v14
	s_waitcnt lgkmcnt(0)
	v_xor_b32_e32 v30, 0x80000000, v17
	v_mov_b32_e32 v31, v16
	v_pk_mul_f32 v[30:31], v[4:5], v[30:31] op_sel_hi:[0,1]
	v_pk_fma_f32 v[16:17], v[16:17], v[28:29], v[30:31] op_sel_hi:[1,0,1]
	v_mul_f32_e32 v14, v11, v5
	ds_read2st64_b64 v[20:23], v22 offset0:8 offset1:16
	v_pk_add_f32 v[16:17], v[24:25], v[16:17] neg_lo:[0,1] neg_hi:[0,1]
	v_xor_b32_e32 v24, 0x80000000, v13
	v_mov_b32_e32 v25, v12
	v_mul_f32_e32 v10, v5, v10
	v_pk_mul_f32 v[24:25], v[14:15], v[24:25] op_sel_hi:[0,1]
	v_pk_fma_f32 v[12:13], v[12:13], v[10:11], v[24:25] op_sel_hi:[1,0,1]
	s_waitcnt lgkmcnt(0)
	v_pk_add_f32 v[12:13], v[16:17], v[12:13] neg_lo:[0,1] neg_hi:[0,1]
	v_xor_b32_e32 v16, 0x80000000, v19
	v_mov_b32_e32 v17, v18
	v_pk_mul_f32 v[16:17], v[4:5], v[16:17] op_sel_hi:[0,1]
	v_pk_fma_f32 v[16:17], v[18:19], v[28:29], v[16:17] op_sel_hi:[1,0,1]
	v_xor_b32_e32 v18, 0x80000000, v23
	v_mov_b32_e32 v19, v22
	v_pk_mul_f32 v[18:19], v[14:15], v[18:19] op_sel_hi:[0,1]
	v_pk_add_f32 v[16:17], v[26:27], v[16:17] neg_lo:[0,1] neg_hi:[0,1]
	v_pk_fma_f32 v[18:19], v[22:23], v[10:11], v[18:19] op_sel_hi:[1,0,1]
	s_barrier
	v_pk_add_f32 v[16:17], v[16:17], v[18:19] neg_lo:[0,1] neg_hi:[0,1]
	v_pk_add_f32 v[18:19], v[8:9], 0 neg_lo:[1,1] neg_hi:[1,1]
	s_nop 0
	v_pk_mov_b32 v[18:19], v[8:9], v[18:19] op_sel:[1,0]
	s_nop 0
	v_pk_mul_f32 v[4:5], v[4:5], v[18:19] op_sel_hi:[0,1]
	v_pk_fma_f32 v[4:5], v[8:9], v[28:29], v[4:5] op_sel_hi:[1,0,1] neg_lo:[1,0,0] neg_hi:[1,0,0]
	v_pk_add_f32 v[8:9], v[20:21], 0 neg_lo:[1,1] neg_hi:[1,1]
	s_nop 0
	v_pk_mov_b32 v[8:9], v[20:21], v[8:9] op_sel:[1,0]
	s_nop 0
	v_pk_mul_f32 v[8:9], v[14:15], v[8:9] op_sel_hi:[0,1]
	v_pk_fma_f32 v[8:9], v[20:21], v[10:11], v[8:9] op_sel_hi:[1,0,1] neg_lo:[1,0,0] neg_hi:[1,0,0]
	ds_write_b64 v6, v[12:13]
	ds_write_b64 v1, v[16:17] offset:8192
	ds_write_b64 v1, v[4:5]
	ds_write_b64 v7, v[8:9]
	v_sub_u32_e64 v4, v0, 16 clamp
	v_lshlrev_b32_e32 v16, 3, v4
	s_waitcnt lgkmcnt(0)
	s_barrier
	ds_read2st64_b64 v[8:11], v16 offset1:4
	v_add_u32_e32 v4, 16, v0
	v_min_i32_e32 v15, s0, v4
	ds_read_b64 v[4:5], v1
	v_lshlrev_b32_e32 v22, 3, v15
	s_waitcnt lgkmcnt(1)
	v_mul_f32_e32 v12, v11, v11
	v_fmac_f32_e32 v12, v10, v10
	v_div_scale_f32 v13, s[6:7], v12, v12, 1.0
	v_rcp_f32_e32 v14, v13
	s_nop 0
	v_fma_f32 v17, -v13, v14, 1.0
	v_fmac_f32_e32 v14, v17, v14
	v_div_scale_f32 v17, vcc, 1.0, v12, 1.0
	v_mul_f32_e32 v18, v17, v14
	v_fma_f32 v19, -v13, v18, v17
	v_fmac_f32_e32 v18, v19, v14
	v_fma_f32 v13, -v13, v18, v17
	v_div_fmas_f32 v13, v13, v14, v18
	v_div_fixup_f32 v17, v13, v12, 1.0
	ds_read2st64_b64 v[12:15], v22 offset1:4
	ds_read_b64 v[20:21], v7
	ds_read_b64 v[24:25], v6
	ds_read_b64 v[26:27], v1 offset:8192
	s_waitcnt lgkmcnt(4)
	v_mul_f32_e32 v18, v11, v5
	v_fmac_f32_e32 v18, v4, v10
	v_mul_f32_e32 v28, v17, v18
	s_waitcnt lgkmcnt(3)
	v_mul_f32_e32 v18, v15, v15
	v_fmac_f32_e32 v18, v14, v14
	v_div_scale_f32 v19, s[6:7], v18, v18, 1.0
	v_rcp_f32_e32 v23, v19
	v_mul_f32_e64 v4, v11, -v4
	v_fmac_f32_e32 v4, v5, v10
	v_mul_f32_e32 v4, v4, v17
	v_fma_f32 v5, -v19, v23, 1.0
	v_fmac_f32_e32 v23, v5, v23
	v_div_scale_f32 v5, vcc, 1.0, v18, 1.0
	v_mul_f32_e32 v10, v5, v23
	v_fma_f32 v11, -v19, v10, v5
	v_fmac_f32_e32 v10, v11, v23
	v_fma_f32 v5, -v19, v10, v5
	v_div_fmas_f32 v5, v5, v23, v10
	v_div_fixup_f32 v5, v5, v18, 1.0
	ds_read2st64_b64 v[16:19], v16 offset0:8 offset1:16
	s_waitcnt lgkmcnt(3)
	v_mul_f32_e64 v11, v15, -v20
	v_mul_f32_e32 v10, v15, v21
	v_fmac_f32_e32 v11, v21, v14
	v_fmac_f32_e32 v10, v20, v14
	s_waitcnt lgkmcnt(0)
	v_xor_b32_e32 v30, 0x80000000, v17
	v_mov_b32_e32 v31, v16
	v_pk_mul_f32 v[30:31], v[4:5], v[30:31] op_sel_hi:[0,1]
	v_pk_fma_f32 v[16:17], v[16:17], v[28:29], v[30:31] op_sel_hi:[1,0,1]
	v_mul_f32_e32 v14, v11, v5
	ds_read2st64_b64 v[20:23], v22 offset0:8 offset1:16
	v_pk_add_f32 v[16:17], v[24:25], v[16:17] neg_lo:[0,1] neg_hi:[0,1]
	v_xor_b32_e32 v24, 0x80000000, v13
	v_mov_b32_e32 v25, v12
	v_mul_f32_e32 v10, v5, v10
	v_pk_mul_f32 v[24:25], v[14:15], v[24:25] op_sel_hi:[0,1]
	v_pk_fma_f32 v[12:13], v[12:13], v[10:11], v[24:25] op_sel_hi:[1,0,1]
	s_waitcnt lgkmcnt(0)
	v_pk_add_f32 v[12:13], v[16:17], v[12:13] neg_lo:[0,1] neg_hi:[0,1]
	v_xor_b32_e32 v16, 0x80000000, v19
	v_mov_b32_e32 v17, v18
	v_pk_mul_f32 v[16:17], v[4:5], v[16:17] op_sel_hi:[0,1]
	v_pk_fma_f32 v[16:17], v[18:19], v[28:29], v[16:17] op_sel_hi:[1,0,1]
	v_xor_b32_e32 v18, 0x80000000, v23
	v_mov_b32_e32 v19, v22
	v_pk_mul_f32 v[18:19], v[14:15], v[18:19] op_sel_hi:[0,1]
	v_pk_add_f32 v[16:17], v[26:27], v[16:17] neg_lo:[0,1] neg_hi:[0,1]
	v_pk_fma_f32 v[18:19], v[22:23], v[10:11], v[18:19] op_sel_hi:[1,0,1]
	s_barrier
	v_pk_add_f32 v[16:17], v[16:17], v[18:19] neg_lo:[0,1] neg_hi:[0,1]
	v_pk_add_f32 v[18:19], v[8:9], 0 neg_lo:[1,1] neg_hi:[1,1]
	s_nop 0
	v_pk_mov_b32 v[18:19], v[8:9], v[18:19] op_sel:[1,0]
	s_nop 0
	v_pk_mul_f32 v[4:5], v[4:5], v[18:19] op_sel_hi:[0,1]
	v_pk_fma_f32 v[4:5], v[8:9], v[28:29], v[4:5] op_sel_hi:[1,0,1] neg_lo:[1,0,0] neg_hi:[1,0,0]
	v_pk_add_f32 v[8:9], v[20:21], 0 neg_lo:[1,1] neg_hi:[1,1]
	s_nop 0
	v_pk_mov_b32 v[8:9], v[20:21], v[8:9] op_sel:[1,0]
	s_nop 0
	v_pk_mul_f32 v[8:9], v[14:15], v[8:9] op_sel_hi:[0,1]
	v_pk_fma_f32 v[8:9], v[20:21], v[10:11], v[8:9] op_sel_hi:[1,0,1] neg_lo:[1,0,0] neg_hi:[1,0,0]
	ds_write_b64 v6, v[12:13]
	ds_write_b64 v1, v[16:17] offset:8192
	ds_write_b64 v1, v[4:5]
	ds_write_b64 v7, v[8:9]
	v_sub_u32_e64 v4, v0, 32 clamp
	v_lshlrev_b32_e32 v16, 3, v4
	s_waitcnt lgkmcnt(0)
	s_barrier
	ds_read2st64_b64 v[8:11], v16 offset1:4
	v_add_u32_e32 v4, 32, v0
	v_min_i32_e32 v15, s0, v4
	ds_read_b64 v[4:5], v1
	v_lshlrev_b32_e32 v22, 3, v15
	s_waitcnt lgkmcnt(1)
	v_mul_f32_e32 v12, v11, v11
	v_fmac_f32_e32 v12, v10, v10
	v_div_scale_f32 v13, s[6:7], v12, v12, 1.0
	v_rcp_f32_e32 v14, v13
	s_nop 0
	v_fma_f32 v17, -v13, v14, 1.0
	v_fmac_f32_e32 v14, v17, v14
	v_div_scale_f32 v17, vcc, 1.0, v12, 1.0
	v_mul_f32_e32 v18, v17, v14
	v_fma_f32 v19, -v13, v18, v17
	v_fmac_f32_e32 v18, v19, v14
	v_fma_f32 v13, -v13, v18, v17
	v_div_fmas_f32 v13, v13, v14, v18
	v_div_fixup_f32 v17, v13, v12, 1.0
	ds_read2st64_b64 v[12:15], v22 offset1:4
	ds_read_b64 v[20:21], v7
	ds_read_b64 v[24:25], v6
	ds_read_b64 v[26:27], v1 offset:8192
	s_waitcnt lgkmcnt(4)
	v_mul_f32_e32 v18, v11, v5
	v_fmac_f32_e32 v18, v4, v10
	v_mul_f32_e32 v28, v17, v18
	s_waitcnt lgkmcnt(3)
	v_mul_f32_e32 v18, v15, v15
	v_fmac_f32_e32 v18, v14, v14
	v_div_scale_f32 v19, s[6:7], v18, v18, 1.0
	v_rcp_f32_e32 v23, v19
	v_mul_f32_e64 v4, v11, -v4
	v_fmac_f32_e32 v4, v5, v10
	v_mul_f32_e32 v4, v4, v17
	v_fma_f32 v5, -v19, v23, 1.0
	v_fmac_f32_e32 v23, v5, v23
	v_div_scale_f32 v5, vcc, 1.0, v18, 1.0
	v_mul_f32_e32 v10, v5, v23
	v_fma_f32 v11, -v19, v10, v5
	v_fmac_f32_e32 v10, v11, v23
	v_fma_f32 v5, -v19, v10, v5
	v_div_fmas_f32 v5, v5, v23, v10
	v_div_fixup_f32 v5, v5, v18, 1.0
	ds_read2st64_b64 v[16:19], v16 offset0:8 offset1:16
	s_waitcnt lgkmcnt(3)
	v_mul_f32_e64 v11, v15, -v20
	v_mul_f32_e32 v10, v15, v21
	v_fmac_f32_e32 v11, v21, v14
	v_fmac_f32_e32 v10, v20, v14
	s_waitcnt lgkmcnt(0)
	v_xor_b32_e32 v30, 0x80000000, v17
	v_mov_b32_e32 v31, v16
	v_pk_mul_f32 v[30:31], v[4:5], v[30:31] op_sel_hi:[0,1]
	v_pk_fma_f32 v[16:17], v[16:17], v[28:29], v[30:31] op_sel_hi:[1,0,1]
	v_mul_f32_e32 v14, v11, v5
	ds_read2st64_b64 v[20:23], v22 offset0:8 offset1:16
	v_pk_add_f32 v[16:17], v[24:25], v[16:17] neg_lo:[0,1] neg_hi:[0,1]
	v_xor_b32_e32 v24, 0x80000000, v13
	v_mov_b32_e32 v25, v12
	v_mul_f32_e32 v10, v5, v10
	v_pk_mul_f32 v[24:25], v[14:15], v[24:25] op_sel_hi:[0,1]
	v_pk_fma_f32 v[12:13], v[12:13], v[10:11], v[24:25] op_sel_hi:[1,0,1]
	s_waitcnt lgkmcnt(0)
	v_pk_add_f32 v[12:13], v[16:17], v[12:13] neg_lo:[0,1] neg_hi:[0,1]
	v_xor_b32_e32 v16, 0x80000000, v19
	v_mov_b32_e32 v17, v18
	v_pk_mul_f32 v[16:17], v[4:5], v[16:17] op_sel_hi:[0,1]
	v_pk_fma_f32 v[16:17], v[18:19], v[28:29], v[16:17] op_sel_hi:[1,0,1]
	v_xor_b32_e32 v18, 0x80000000, v23
	v_mov_b32_e32 v19, v22
	v_pk_mul_f32 v[18:19], v[14:15], v[18:19] op_sel_hi:[0,1]
	v_pk_add_f32 v[16:17], v[26:27], v[16:17] neg_lo:[0,1] neg_hi:[0,1]
	v_pk_fma_f32 v[18:19], v[22:23], v[10:11], v[18:19] op_sel_hi:[1,0,1]
	s_barrier
	v_pk_add_f32 v[16:17], v[16:17], v[18:19] neg_lo:[0,1] neg_hi:[0,1]
	v_pk_add_f32 v[18:19], v[8:9], 0 neg_lo:[1,1] neg_hi:[1,1]
	s_nop 0
	v_pk_mov_b32 v[18:19], v[8:9], v[18:19] op_sel:[1,0]
	s_nop 0
	v_pk_mul_f32 v[4:5], v[4:5], v[18:19] op_sel_hi:[0,1]
	v_pk_fma_f32 v[4:5], v[8:9], v[28:29], v[4:5] op_sel_hi:[1,0,1] neg_lo:[1,0,0] neg_hi:[1,0,0]
	v_pk_add_f32 v[8:9], v[20:21], 0 neg_lo:[1,1] neg_hi:[1,1]
	s_nop 0
	v_pk_mov_b32 v[8:9], v[20:21], v[8:9] op_sel:[1,0]
	s_nop 0
	v_pk_mul_f32 v[8:9], v[14:15], v[8:9] op_sel_hi:[0,1]
	v_pk_fma_f32 v[8:9], v[20:21], v[10:11], v[8:9] op_sel_hi:[1,0,1] neg_lo:[1,0,0] neg_hi:[1,0,0]
	ds_write_b64 v6, v[12:13]
	ds_write_b64 v1, v[16:17] offset:8192
	ds_write_b64 v1, v[4:5]
	ds_write_b64 v7, v[8:9]
	v_sub_u32_e64 v4, v0, 64 clamp
	v_lshlrev_b32_e32 v16, 3, v4
	s_waitcnt lgkmcnt(0)
	s_barrier
	ds_read2st64_b64 v[8:11], v16 offset1:4
	v_add_u32_e32 v4, 64, v0
	v_min_i32_e32 v15, s0, v4
	ds_read_b64 v[4:5], v1
	v_lshlrev_b32_e32 v22, 3, v15
	s_waitcnt lgkmcnt(1)
	v_mul_f32_e32 v12, v11, v11
	v_fmac_f32_e32 v12, v10, v10
	v_div_scale_f32 v13, s[6:7], v12, v12, 1.0
	v_rcp_f32_e32 v14, v13
	s_nop 0
	v_fma_f32 v17, -v13, v14, 1.0
	v_fmac_f32_e32 v14, v17, v14
	v_div_scale_f32 v17, vcc, 1.0, v12, 1.0
	v_mul_f32_e32 v18, v17, v14
	v_fma_f32 v19, -v13, v18, v17
	v_fmac_f32_e32 v18, v19, v14
	v_fma_f32 v13, -v13, v18, v17
	v_div_fmas_f32 v13, v13, v14, v18
	v_div_fixup_f32 v17, v13, v12, 1.0
	ds_read2st64_b64 v[12:15], v22 offset1:4
	ds_read_b64 v[20:21], v7
	ds_read_b64 v[24:25], v6
	ds_read_b64 v[26:27], v1 offset:8192
	s_waitcnt lgkmcnt(4)
	v_mul_f32_e32 v18, v11, v5
	v_fmac_f32_e32 v18, v4, v10
	v_mul_f32_e32 v28, v17, v18
	s_waitcnt lgkmcnt(3)
	v_mul_f32_e32 v18, v15, v15
	v_fmac_f32_e32 v18, v14, v14
	v_div_scale_f32 v19, s[0:1], v18, v18, 1.0
	v_rcp_f32_e32 v23, v19
	v_mul_f32_e64 v4, v11, -v4
	v_fmac_f32_e32 v4, v5, v10
	v_mul_f32_e32 v4, v4, v17
	v_fma_f32 v5, -v19, v23, 1.0
	v_fmac_f32_e32 v23, v5, v23
	v_div_scale_f32 v5, vcc, 1.0, v18, 1.0
	v_mul_f32_e32 v10, v5, v23
	v_fma_f32 v11, -v19, v10, v5
	v_fmac_f32_e32 v10, v11, v23
	v_fma_f32 v5, -v19, v10, v5
	v_div_fmas_f32 v5, v5, v23, v10
	v_div_fixup_f32 v5, v5, v18, 1.0
	ds_read2st64_b64 v[16:19], v16 offset0:8 offset1:16
	s_waitcnt lgkmcnt(3)
	v_mul_f32_e64 v11, v15, -v20
	v_mul_f32_e32 v10, v15, v21
	v_fmac_f32_e32 v11, v21, v14
	v_fmac_f32_e32 v10, v20, v14
	s_waitcnt lgkmcnt(0)
	v_xor_b32_e32 v30, 0x80000000, v17
	v_mov_b32_e32 v31, v16
	v_pk_mul_f32 v[30:31], v[4:5], v[30:31] op_sel_hi:[0,1]
	v_pk_fma_f32 v[16:17], v[16:17], v[28:29], v[30:31] op_sel_hi:[1,0,1]
	v_mul_f32_e32 v14, v11, v5
	ds_read2st64_b64 v[20:23], v22 offset0:8 offset1:16
	v_pk_add_f32 v[16:17], v[24:25], v[16:17] neg_lo:[0,1] neg_hi:[0,1]
	v_xor_b32_e32 v24, 0x80000000, v13
	v_mov_b32_e32 v25, v12
	v_mul_f32_e32 v10, v5, v10
	v_pk_mul_f32 v[24:25], v[14:15], v[24:25] op_sel_hi:[0,1]
	v_pk_fma_f32 v[12:13], v[12:13], v[10:11], v[24:25] op_sel_hi:[1,0,1]
	s_movk_i32 s0, 0x80
	v_pk_add_f32 v[12:13], v[16:17], v[12:13] neg_lo:[0,1] neg_hi:[0,1]
	v_xor_b32_e32 v16, 0x80000000, v19
	v_mov_b32_e32 v17, v18
	v_pk_mul_f32 v[16:17], v[4:5], v[16:17] op_sel_hi:[0,1]
	v_pk_fma_f32 v[16:17], v[18:19], v[28:29], v[16:17] op_sel_hi:[1,0,1]
	s_waitcnt lgkmcnt(0)
	v_xor_b32_e32 v18, 0x80000000, v23
	v_mov_b32_e32 v19, v22
	v_pk_mul_f32 v[18:19], v[14:15], v[18:19] op_sel_hi:[0,1]
	v_pk_add_f32 v[16:17], v[26:27], v[16:17] neg_lo:[0,1] neg_hi:[0,1]
	v_pk_fma_f32 v[18:19], v[22:23], v[10:11], v[18:19] op_sel_hi:[1,0,1]
	v_cmp_gt_u32_e32 vcc, s0, v0
	v_pk_add_f32 v[16:17], v[16:17], v[18:19] neg_lo:[0,1] neg_hi:[0,1]
	v_pk_add_f32 v[18:19], v[8:9], 0 neg_lo:[1,1] neg_hi:[1,1]
	s_nop 0
	v_pk_mov_b32 v[18:19], v[8:9], v[18:19] op_sel:[1,0]
	s_barrier
	v_pk_mul_f32 v[4:5], v[4:5], v[18:19] op_sel_hi:[0,1]
	v_pk_fma_f32 v[4:5], v[8:9], v[28:29], v[4:5] op_sel_hi:[1,0,1] neg_lo:[1,0,0] neg_hi:[1,0,0]
	v_pk_add_f32 v[8:9], v[20:21], 0 neg_lo:[1,1] neg_hi:[1,1]
	s_nop 0
	v_pk_mov_b32 v[8:9], v[20:21], v[8:9] op_sel:[1,0]
	s_nop 0
	v_pk_mul_f32 v[8:9], v[14:15], v[8:9] op_sel_hi:[0,1]
	v_pk_fma_f32 v[8:9], v[20:21], v[10:11], v[8:9] op_sel_hi:[1,0,1] neg_lo:[1,0,0] neg_hi:[1,0,0]
	ds_write_b64 v6, v[12:13]
	ds_write_b64 v1, v[16:17] offset:8192
	ds_write_b64 v1, v[4:5]
	ds_write_b64 v7, v[8:9]
	s_waitcnt lgkmcnt(0)
	s_barrier
	s_and_saveexec_b64 s[0:1], vcc
	s_cbranch_execz .LBB57_14
; %bb.9:
	v_or_b32_e32 v8, 0x80, v0
	v_or_b32_e32 v9, 0x2000, v1
	v_cmp_le_i32_e32 vcc, s8, v8
                                        ; implicit-def: $vgpr4_vgpr5
	s_and_saveexec_b64 s[6:7], vcc
	s_xor_b64 s[6:7], exec, s[6:7]
	s_cbranch_execz .LBB57_11
; %bb.10:
	ds_read_b64 v[4:5], v6
	ds_read_b64 v[6:7], v9
	s_waitcnt lgkmcnt(1)
	v_mul_f32_e32 v10, v5, v5
	v_fmac_f32_e32 v10, v4, v4
	v_div_scale_f32 v11, s[8:9], v10, v10, 1.0
	v_rcp_f32_e32 v12, v11
	v_div_scale_f32 v13, vcc, 1.0, v10, 1.0
	s_waitcnt lgkmcnt(0)
	v_xor_b32_e32 v9, 0x80000000, v6
	v_fma_f32 v14, -v11, v12, 1.0
	v_fmac_f32_e32 v12, v14, v12
	v_mul_f32_e32 v14, v13, v12
	v_fma_f32 v15, -v11, v14, v13
	v_fmac_f32_e32 v14, v15, v12
	v_mov_b32_e32 v8, v7
	v_fma_f32 v11, -v11, v14, v13
	v_div_fmas_f32 v11, v11, v12, v14
	v_pk_mul_f32 v[8:9], v[4:5], v[8:9] op_sel:[1,0]
	v_div_fixup_f32 v10, v11, v10, 1.0
	v_pk_fma_f32 v[4:5], v[6:7], v[4:5], v[8:9] op_sel_hi:[1,0,1]
                                        ; implicit-def: $vgpr6
                                        ; implicit-def: $vgpr7
                                        ; implicit-def: $vgpr9
                                        ; implicit-def: $vgpr8
	s_nop 0
	v_pk_mul_f32 v[4:5], v[10:11], v[4:5] op_sel_hi:[0,1]
.LBB57_11:
	s_andn2_saveexec_b64 s[6:7], s[6:7]
	s_cbranch_execz .LBB57_13
; %bb.12:
	ds_read2st64_b64 v[10:13], v6 offset1:2
	ds_read_b64 v[4:5], v7
	ds_read_b32 v0, v9
	ds_read_b64 v[6:7], v9
	ds_read_b64 v[14:15], v1 offset:1024
	s_waitcnt lgkmcnt(4)
	v_xor_b32_e32 v16, 0x80000000, v13
	s_waitcnt lgkmcnt(3)
	v_xor_b32_e32 v18, 0x80000000, v5
	v_mov_b32_e32 v17, v12
	v_mov_b32_e32 v19, v4
	v_pk_mul_f32 v[20:21], v[10:11], v[16:17] op_sel:[1,0]
	s_waitcnt lgkmcnt(0)
	v_pk_mul_f32 v[22:23], v[14:15], v[18:19] op_sel:[1,0]
	v_pk_fma_f32 v[20:21], v[12:13], v[10:11], v[20:21] op_sel_hi:[1,0,1]
	v_pk_fma_f32 v[22:23], v[4:5], v[14:15], v[22:23] op_sel_hi:[1,0,1]
	s_nop 0
	v_pk_add_f32 v[20:21], v[20:21], v[22:23] neg_lo:[0,1] neg_hi:[0,1]
	v_add_u32_e32 v22, 4, v9
	v_mul_f32_e32 v25, v21, v21
	v_fmac_f32_e32 v25, v20, v20
	v_div_scale_f32 v26, s[8:9], v25, v25, 1.0
	v_rcp_f32_e32 v27, v26
	ds_read2_b32 v[22:23], v22 offset1:255
	ds_read_b32 v24, v9 offset:1028
	v_fma_f32 v28, -v26, v27, 1.0
	v_fmac_f32_e32 v27, v28, v27
	v_div_scale_f32 v28, vcc, 1.0, v25, 1.0
	v_mul_f32_e32 v29, v28, v27
	v_fma_f32 v30, -v26, v29, v28
	v_fmac_f32_e32 v29, v30, v27
	v_fma_f32 v26, -v26, v29, v28
	v_div_fmas_f32 v26, v26, v27, v29
	v_div_fixup_f32 v25, v26, v25, 1.0
	s_waitcnt lgkmcnt(1)
	v_pk_mul_f32 v[16:17], v[22:23], v[16:17] op_sel_hi:[0,1]
	v_pk_fma_f32 v[12:13], v[12:13], v[0:1], v[16:17] op_sel_hi:[1,0,1]
	s_waitcnt lgkmcnt(0)
	v_pk_mul_f32 v[18:19], v[24:25], v[18:19] op_sel_hi:[0,1]
	v_mov_b32_e32 v0, v23
	ds_read_b64 v[16:17], v9 offset:1024
	v_pk_fma_f32 v[4:5], v[4:5], v[0:1], v[18:19] op_sel_hi:[1,0,1]
	v_fma_f32 v26, 0, v21, v20
	v_fma_f32 v20, v20, 0, -v21
	v_pk_add_f32 v[4:5], v[12:13], v[4:5] neg_lo:[0,1] neg_hi:[0,1]
	v_mul_f32_e32 v20, v20, v25
	v_xor_b32_e32 v12, 0x80000000, v5
	v_mov_b32_e32 v13, v4
	v_mul_f32_e32 v26, v26, v25
	v_pk_mul_f32 v[12:13], v[20:21], v[12:13] op_sel_hi:[0,1]
	v_pk_fma_f32 v[4:5], v[4:5], v[26:27], v[12:13] op_sel_hi:[1,0,1]
	ds_write_b64 v1, v[4:5] offset:6144
	s_waitcnt lgkmcnt(1)
	v_xor_b32_e32 v4, 0x80000000, v17
	v_mov_b32_e32 v5, v16
	v_pk_mul_f32 v[4:5], v[10:11], v[4:5] op_sel:[1,0]
	v_mov_b32_e32 v0, v8
	v_pk_fma_f32 v[4:5], v[16:17], v[10:11], v[4:5] op_sel_hi:[1,0,1]
	v_xor_b32_e32 v10, 0x80000000, v7
	v_mov_b32_e32 v11, v6
	v_pk_mul_f32 v[10:11], v[14:15], v[10:11] op_sel:[1,0]
	s_nop 0
	v_pk_fma_f32 v[6:7], v[6:7], v[14:15], v[10:11] op_sel_hi:[1,0,1]
	s_nop 0
	v_pk_add_f32 v[4:5], v[4:5], v[6:7] neg_lo:[0,1] neg_hi:[0,1]
	s_nop 0
	v_xor_b32_e32 v6, 0x80000000, v5
	v_mov_b32_e32 v7, v4
	v_pk_mul_f32 v[6:7], v[20:21], v[6:7] op_sel_hi:[0,1]
	v_pk_fma_f32 v[4:5], v[4:5], v[26:27], v[6:7] op_sel_hi:[1,0,1]
.LBB57_13:
	s_or_b64 exec, exec, s[6:7]
	v_lshlrev_b32_e32 v0, 3, v0
	ds_write_b64 v0, v[4:5] offset:6144
.LBB57_14:
	s_or_b64 exec, exec, s[0:1]
	s_waitcnt lgkmcnt(0)
	s_barrier
	s_and_saveexec_b64 s[0:1], s[2:3]
	s_cbranch_execz .LBB57_16
; %bb.15:
	ds_read_b64 v[0:1], v1 offset:6144
	v_lshl_add_u64 v[2:3], v[2:3], 3, s[4:5]
	s_waitcnt lgkmcnt(0)
	global_store_dwordx2 v[2:3], v[0:1], off
.LBB57_16:
	s_endpgm
	.section	.rodata,"a",@progbits
	.p2align	6, 0x0
	.amdhsa_kernel _ZN9rocsparseL44gtsv_nopivot_strided_batch_pcr_shared_kernelILj256E21rocsparse_complex_numIfEEEviiiPKT0_S5_S5_PS3_
		.amdhsa_group_segment_fixed_size 10240
		.amdhsa_private_segment_fixed_size 0
		.amdhsa_kernarg_size 48
		.amdhsa_user_sgpr_count 2
		.amdhsa_user_sgpr_dispatch_ptr 0
		.amdhsa_user_sgpr_queue_ptr 0
		.amdhsa_user_sgpr_kernarg_segment_ptr 1
		.amdhsa_user_sgpr_dispatch_id 0
		.amdhsa_user_sgpr_kernarg_preload_length 0
		.amdhsa_user_sgpr_kernarg_preload_offset 0
		.amdhsa_user_sgpr_private_segment_size 0
		.amdhsa_uses_dynamic_stack 0
		.amdhsa_enable_private_segment 0
		.amdhsa_system_sgpr_workgroup_id_x 1
		.amdhsa_system_sgpr_workgroup_id_y 0
		.amdhsa_system_sgpr_workgroup_id_z 0
		.amdhsa_system_sgpr_workgroup_info 0
		.amdhsa_system_vgpr_workitem_id 0
		.amdhsa_next_free_vgpr 32
		.amdhsa_next_free_sgpr 10
		.amdhsa_accum_offset 32
		.amdhsa_reserve_vcc 1
		.amdhsa_float_round_mode_32 0
		.amdhsa_float_round_mode_16_64 0
		.amdhsa_float_denorm_mode_32 3
		.amdhsa_float_denorm_mode_16_64 3
		.amdhsa_dx10_clamp 1
		.amdhsa_ieee_mode 1
		.amdhsa_fp16_overflow 0
		.amdhsa_tg_split 0
		.amdhsa_exception_fp_ieee_invalid_op 0
		.amdhsa_exception_fp_denorm_src 0
		.amdhsa_exception_fp_ieee_div_zero 0
		.amdhsa_exception_fp_ieee_overflow 0
		.amdhsa_exception_fp_ieee_underflow 0
		.amdhsa_exception_fp_ieee_inexact 0
		.amdhsa_exception_int_div_zero 0
	.end_amdhsa_kernel
	.section	.text._ZN9rocsparseL44gtsv_nopivot_strided_batch_pcr_shared_kernelILj256E21rocsparse_complex_numIfEEEviiiPKT0_S5_S5_PS3_,"axG",@progbits,_ZN9rocsparseL44gtsv_nopivot_strided_batch_pcr_shared_kernelILj256E21rocsparse_complex_numIfEEEviiiPKT0_S5_S5_PS3_,comdat
.Lfunc_end57:
	.size	_ZN9rocsparseL44gtsv_nopivot_strided_batch_pcr_shared_kernelILj256E21rocsparse_complex_numIfEEEviiiPKT0_S5_S5_PS3_, .Lfunc_end57-_ZN9rocsparseL44gtsv_nopivot_strided_batch_pcr_shared_kernelILj256E21rocsparse_complex_numIfEEEviiiPKT0_S5_S5_PS3_
                                        ; -- End function
	.set _ZN9rocsparseL44gtsv_nopivot_strided_batch_pcr_shared_kernelILj256E21rocsparse_complex_numIfEEEviiiPKT0_S5_S5_PS3_.num_vgpr, 32
	.set _ZN9rocsparseL44gtsv_nopivot_strided_batch_pcr_shared_kernelILj256E21rocsparse_complex_numIfEEEviiiPKT0_S5_S5_PS3_.num_agpr, 0
	.set _ZN9rocsparseL44gtsv_nopivot_strided_batch_pcr_shared_kernelILj256E21rocsparse_complex_numIfEEEviiiPKT0_S5_S5_PS3_.numbered_sgpr, 10
	.set _ZN9rocsparseL44gtsv_nopivot_strided_batch_pcr_shared_kernelILj256E21rocsparse_complex_numIfEEEviiiPKT0_S5_S5_PS3_.num_named_barrier, 0
	.set _ZN9rocsparseL44gtsv_nopivot_strided_batch_pcr_shared_kernelILj256E21rocsparse_complex_numIfEEEviiiPKT0_S5_S5_PS3_.private_seg_size, 0
	.set _ZN9rocsparseL44gtsv_nopivot_strided_batch_pcr_shared_kernelILj256E21rocsparse_complex_numIfEEEviiiPKT0_S5_S5_PS3_.uses_vcc, 1
	.set _ZN9rocsparseL44gtsv_nopivot_strided_batch_pcr_shared_kernelILj256E21rocsparse_complex_numIfEEEviiiPKT0_S5_S5_PS3_.uses_flat_scratch, 0
	.set _ZN9rocsparseL44gtsv_nopivot_strided_batch_pcr_shared_kernelILj256E21rocsparse_complex_numIfEEEviiiPKT0_S5_S5_PS3_.has_dyn_sized_stack, 0
	.set _ZN9rocsparseL44gtsv_nopivot_strided_batch_pcr_shared_kernelILj256E21rocsparse_complex_numIfEEEviiiPKT0_S5_S5_PS3_.has_recursion, 0
	.set _ZN9rocsparseL44gtsv_nopivot_strided_batch_pcr_shared_kernelILj256E21rocsparse_complex_numIfEEEviiiPKT0_S5_S5_PS3_.has_indirect_call, 0
	.section	.AMDGPU.csdata,"",@progbits
; Kernel info:
; codeLenInByte = 5224
; TotalNumSgprs: 16
; NumVgprs: 32
; NumAgprs: 0
; TotalNumVgprs: 32
; ScratchSize: 0
; MemoryBound: 0
; FloatMode: 240
; IeeeMode: 1
; LDSByteSize: 10240 bytes/workgroup (compile time only)
; SGPRBlocks: 1
; VGPRBlocks: 3
; NumSGPRsForWavesPerEU: 16
; NumVGPRsForWavesPerEU: 32
; AccumOffset: 32
; Occupancy: 8
; WaveLimiterHint : 0
; COMPUTE_PGM_RSRC2:SCRATCH_EN: 0
; COMPUTE_PGM_RSRC2:USER_SGPR: 2
; COMPUTE_PGM_RSRC2:TRAP_HANDLER: 0
; COMPUTE_PGM_RSRC2:TGID_X_EN: 1
; COMPUTE_PGM_RSRC2:TGID_Y_EN: 0
; COMPUTE_PGM_RSRC2:TGID_Z_EN: 0
; COMPUTE_PGM_RSRC2:TIDIG_COMP_CNT: 0
; COMPUTE_PGM_RSRC3_GFX90A:ACCUM_OFFSET: 7
; COMPUTE_PGM_RSRC3_GFX90A:TG_SPLIT: 0
	.section	.text._ZN9rocsparseL44gtsv_nopivot_strided_batch_pcr_shared_kernelILj512E21rocsparse_complex_numIfEEEviiiPKT0_S5_S5_PS3_,"axG",@progbits,_ZN9rocsparseL44gtsv_nopivot_strided_batch_pcr_shared_kernelILj512E21rocsparse_complex_numIfEEEviiiPKT0_S5_S5_PS3_,comdat
	.globl	_ZN9rocsparseL44gtsv_nopivot_strided_batch_pcr_shared_kernelILj512E21rocsparse_complex_numIfEEEviiiPKT0_S5_S5_PS3_ ; -- Begin function _ZN9rocsparseL44gtsv_nopivot_strided_batch_pcr_shared_kernelILj512E21rocsparse_complex_numIfEEEviiiPKT0_S5_S5_PS3_
	.p2align	8
	.type	_ZN9rocsparseL44gtsv_nopivot_strided_batch_pcr_shared_kernelILj512E21rocsparse_complex_numIfEEEviiiPKT0_S5_S5_PS3_,@function
_ZN9rocsparseL44gtsv_nopivot_strided_batch_pcr_shared_kernelILj512E21rocsparse_complex_numIfEEEviiiPKT0_S5_S5_PS3_: ; @_ZN9rocsparseL44gtsv_nopivot_strided_batch_pcr_shared_kernelILj512E21rocsparse_complex_numIfEEEviiiPKT0_S5_S5_PS3_
; %bb.0:
	s_load_dword s3, s[0:1], 0x8
	s_load_dword s8, s[0:1], 0x0
	v_mov_b32_e32 v4, 0
	v_mov_b32_e32 v6, 0
	v_mov_b32_e32 v7, 0
	s_waitcnt lgkmcnt(0)
	s_mul_i32 s4, s3, s2
	v_add_u32_e32 v2, s4, v0
	v_cmp_gt_i32_e64 s[2:3], s8, v0
	v_ashrrev_i32_e32 v3, 31, v2
	s_and_saveexec_b64 s[4:5], s[2:3]
	s_cbranch_execz .LBB58_2
; %bb.1:
	s_load_dwordx2 s[6:7], s[0:1], 0x10
	s_waitcnt lgkmcnt(0)
	v_lshl_add_u64 v[6:7], v[2:3], 3, s[6:7]
	global_load_dwordx2 v[6:7], v[6:7], off
.LBB58_2:
	s_or_b64 exec, exec, s[4:5]
	v_lshlrev_b32_e32 v1, 3, v0
	v_mov_b32_e32 v5, 0
	s_waitcnt vmcnt(0)
	ds_write_b64 v1, v[6:7]
	s_and_saveexec_b64 s[4:5], s[2:3]
	s_cbranch_execz .LBB58_4
; %bb.3:
	s_load_dwordx2 s[6:7], s[0:1], 0x18
	s_waitcnt lgkmcnt(0)
	v_lshl_add_u64 v[4:5], v[2:3], 3, s[6:7]
	global_load_dwordx2 v[4:5], v[4:5], off
.LBB58_4:
	s_or_b64 exec, exec, s[4:5]
	s_load_dwordx2 s[4:5], s[0:1], 0x28
	s_waitcnt vmcnt(0)
	ds_write_b64 v1, v[4:5] offset:4096
	v_mov_b32_e32 v4, 0
	v_mov_b32_e32 v6, 0
	;; [unrolled: 1-line block ×3, first 2 shown]
	s_and_saveexec_b64 s[6:7], s[2:3]
	s_cbranch_execz .LBB58_6
; %bb.5:
	s_load_dwordx2 s[0:1], s[0:1], 0x20
	s_waitcnt lgkmcnt(0)
	v_lshl_add_u64 v[6:7], v[2:3], 3, s[0:1]
	global_load_dwordx2 v[6:7], v[6:7], off
.LBB58_6:
	s_or_b64 exec, exec, s[6:7]
	v_or_b32_e32 v8, 0x1000, v1
	v_or_b32_e32 v9, 0x2000, v1
	v_mov_b32_e32 v5, 0
	s_waitcnt vmcnt(0)
	ds_write_b64 v1, v[6:7] offset:8192
	s_and_saveexec_b64 s[0:1], s[2:3]
	s_cbranch_execz .LBB58_8
; %bb.7:
	s_waitcnt lgkmcnt(0)
	v_lshl_add_u64 v[4:5], v[2:3], 3, s[4:5]
	global_load_dwordx2 v[4:5], v[4:5], off
.LBB58_8:
	s_or_b64 exec, exec, s[0:1]
	s_waitcnt vmcnt(0)
	ds_write_b64 v1, v[4:5] offset:16384
	v_max_i32_e32 v4, 1, v0
	v_lshlrev_b32_e32 v16, 3, v4
	v_add_u32_e32 v4, 0x1f8, v16
	s_waitcnt lgkmcnt(0)
	s_barrier
	ds_read2st64_b64 v[4:7], v4 offset0:7 offset1:15
	s_add_i32 s0, s8, -1
	v_add_u32_e32 v10, 1, v0
	v_min_i32_e32 v10, s0, v10
	v_add_u32_e32 v18, -8, v16
	s_waitcnt lgkmcnt(0)
	v_mul_f32_e32 v11, v5, v5
	v_fmac_f32_e32 v11, v4, v4
	v_div_scale_f32 v12, s[6:7], v11, v11, 1.0
	v_rcp_f32_e32 v13, v12
	v_lshlrev_b32_e32 v27, 3, v10
	ds_read_b64 v[14:15], v1
	v_xor_b32_e32 v30, 0x80000000, v7
	v_fma_f32 v17, -v12, v13, 1.0
	v_fmac_f32_e32 v13, v17, v13
	v_div_scale_f32 v17, vcc, 1.0, v11, 1.0
	v_mul_f32_e32 v19, v17, v13
	v_fma_f32 v20, -v12, v19, v17
	v_fmac_f32_e32 v19, v20, v13
	v_fma_f32 v12, -v12, v19, v17
	v_div_fmas_f32 v12, v12, v13, v19
	v_div_fixup_f32 v23, v12, v11, 1.0
	ds_read2st64_b64 v[10:13], v27 offset1:8
	ds_read_b64 v[16:17], v16 offset:16376
	ds_read_b64 v[18:19], v18
	ds_read_b64 v[20:21], v1 offset:16384
	s_waitcnt lgkmcnt(4)
	v_mul_f32_e32 v22, v5, v15
	s_waitcnt lgkmcnt(3)
	v_mul_f32_e32 v24, v13, v13
	v_fmac_f32_e32 v24, v12, v12
	v_div_scale_f32 v25, s[6:7], v24, v24, 1.0
	v_rcp_f32_e32 v26, v25
	v_mul_f32_e64 v5, v5, -v14
	v_fmac_f32_e32 v5, v15, v4
	v_fmac_f32_e32 v22, v14, v4
	v_mul_f32_e32 v4, v5, v23
	v_fma_f32 v5, -v25, v26, 1.0
	v_fmac_f32_e32 v26, v5, v26
	v_div_scale_f32 v5, vcc, 1.0, v24, 1.0
	v_mul_f32_e32 v22, v23, v22
	v_mul_f32_e32 v23, v5, v26
	v_fma_f32 v28, -v25, v23, v5
	ds_read_b64 v[14:15], v9
	v_fmac_f32_e32 v23, v28, v26
	v_fma_f32 v5, -v25, v23, v5
	v_div_fmas_f32 v5, v5, v26, v23
	v_div_fixup_f32 v5, v5, v24, 1.0
	ds_read_b64 v[24:25], v8
	s_waitcnt lgkmcnt(1)
	v_mul_f32_e32 v23, v13, v15
	v_mov_b32_e32 v31, v6
	v_fmac_f32_e32 v23, v14, v12
	v_mul_f32_e64 v13, v13, -v14
	v_pk_mul_f32 v[30:31], v[4:5], v[30:31] op_sel_hi:[0,1]
	v_fmac_f32_e32 v13, v15, v12
	v_pk_fma_f32 v[6:7], v[6:7], v[22:23], v[30:31] op_sel_hi:[1,0,1]
	v_mul_f32_e32 v28, v13, v5
	ds_read2st64_b64 v[12:15], v27 offset0:16 offset1:32
	s_waitcnt lgkmcnt(1)
	v_pk_add_f32 v[6:7], v[24:25], v[6:7] neg_lo:[0,1] neg_hi:[0,1]
	v_xor_b32_e32 v24, 0x80000000, v11
	v_mov_b32_e32 v25, v10
	v_mul_f32_e32 v26, v5, v23
	v_pk_mul_f32 v[24:25], v[28:29], v[24:25] op_sel_hi:[0,1]
	v_pk_fma_f32 v[10:11], v[10:11], v[26:27], v[24:25] op_sel_hi:[1,0,1]
	s_waitcnt lgkmcnt(0)
	v_pk_add_f32 v[6:7], v[6:7], v[10:11] neg_lo:[0,1] neg_hi:[0,1]
	v_xor_b32_e32 v10, 0x80000000, v17
	v_mov_b32_e32 v11, v16
	v_pk_mul_f32 v[10:11], v[4:5], v[10:11] op_sel_hi:[0,1]
	v_pk_fma_f32 v[10:11], v[16:17], v[22:23], v[10:11] op_sel_hi:[1,0,1]
	v_xor_b32_e32 v16, 0x80000000, v15
	v_mov_b32_e32 v17, v14
	v_pk_mul_f32 v[16:17], v[28:29], v[16:17] op_sel_hi:[0,1]
	v_pk_add_f32 v[10:11], v[20:21], v[10:11] neg_lo:[0,1] neg_hi:[0,1]
	v_pk_fma_f32 v[14:15], v[14:15], v[26:27], v[16:17] op_sel_hi:[1,0,1]
	s_barrier
	v_pk_add_f32 v[10:11], v[10:11], v[14:15] neg_lo:[0,1] neg_hi:[0,1]
	v_pk_add_f32 v[14:15], v[18:19], 0 neg_lo:[1,1] neg_hi:[1,1]
	s_nop 0
	v_pk_mov_b32 v[14:15], v[18:19], v[14:15] op_sel:[1,0]
	s_movk_i32 s9, 0x100
	v_pk_mul_f32 v[4:5], v[4:5], v[14:15] op_sel_hi:[0,1]
	v_pk_add_f32 v[14:15], v[12:13], 0 neg_lo:[1,1] neg_hi:[1,1]
	v_pk_fma_f32 v[4:5], v[18:19], v[22:23], v[4:5] op_sel_hi:[1,0,1] neg_lo:[1,0,0] neg_hi:[1,0,0]
	v_pk_mov_b32 v[14:15], v[12:13], v[14:15] op_sel:[1,0]
	s_nop 0
	v_pk_mul_f32 v[14:15], v[28:29], v[14:15] op_sel_hi:[0,1]
	v_pk_fma_f32 v[12:13], v[12:13], v[26:27], v[14:15] op_sel_hi:[1,0,1] neg_lo:[1,0,0] neg_hi:[1,0,0]
	ds_write_b64 v8, v[6:7]
	ds_write_b64 v1, v[10:11] offset:16384
	ds_write_b64 v1, v[4:5]
	ds_write_b64 v9, v[12:13]
	v_max_i32_e32 v4, 2, v0
	v_lshlrev_b32_e32 v16, 3, v4
	v_add_u32_e32 v4, 0x1f0, v16
	s_waitcnt lgkmcnt(0)
	s_barrier
	ds_read2st64_b64 v[4:7], v4 offset0:7 offset1:15
	v_add_u32_e32 v10, 2, v0
	v_min_i32_e32 v10, s0, v10
	v_add_u32_e32 v18, -16, v16
	v_lshlrev_b32_e32 v27, 3, v10
	s_waitcnt lgkmcnt(0)
	v_mul_f32_e32 v11, v5, v5
	v_fmac_f32_e32 v11, v4, v4
	v_div_scale_f32 v12, s[6:7], v11, v11, 1.0
	v_rcp_f32_e32 v13, v12
	ds_read_b64 v[14:15], v1
	v_xor_b32_e32 v30, 0x80000000, v7
	v_mov_b32_e32 v31, v6
	v_fma_f32 v17, -v12, v13, 1.0
	v_fmac_f32_e32 v13, v17, v13
	v_div_scale_f32 v17, vcc, 1.0, v11, 1.0
	v_mul_f32_e32 v19, v17, v13
	v_fma_f32 v20, -v12, v19, v17
	v_fmac_f32_e32 v19, v20, v13
	v_fma_f32 v12, -v12, v19, v17
	v_div_fmas_f32 v12, v12, v13, v19
	v_div_fixup_f32 v23, v12, v11, 1.0
	ds_read2st64_b64 v[10:13], v27 offset1:8
	ds_read_b64 v[16:17], v16 offset:16368
	ds_read_b64 v[18:19], v18
	ds_read_b64 v[20:21], v1 offset:16384
	s_waitcnt lgkmcnt(4)
	v_mul_f32_e32 v22, v5, v15
	s_waitcnt lgkmcnt(3)
	v_mul_f32_e32 v24, v13, v13
	v_fmac_f32_e32 v24, v12, v12
	v_div_scale_f32 v25, s[6:7], v24, v24, 1.0
	v_rcp_f32_e32 v26, v25
	v_mul_f32_e64 v5, v5, -v14
	v_fmac_f32_e32 v5, v15, v4
	v_fmac_f32_e32 v22, v14, v4
	v_mul_f32_e32 v4, v5, v23
	v_fma_f32 v5, -v25, v26, 1.0
	v_fmac_f32_e32 v26, v5, v26
	v_div_scale_f32 v5, vcc, 1.0, v24, 1.0
	v_mul_f32_e32 v22, v23, v22
	v_mul_f32_e32 v23, v5, v26
	v_fma_f32 v28, -v25, v23, v5
	ds_read_b64 v[14:15], v9
	v_fmac_f32_e32 v23, v28, v26
	v_fma_f32 v5, -v25, v23, v5
	v_div_fmas_f32 v5, v5, v26, v23
	v_div_fixup_f32 v5, v5, v24, 1.0
	ds_read_b64 v[24:25], v8
	s_waitcnt lgkmcnt(1)
	v_mul_f32_e32 v23, v13, v15
	v_fmac_f32_e32 v23, v14, v12
	v_mul_f32_e64 v13, v13, -v14
	v_pk_mul_f32 v[30:31], v[4:5], v[30:31] op_sel_hi:[0,1]
	v_fmac_f32_e32 v13, v15, v12
	v_pk_fma_f32 v[6:7], v[6:7], v[22:23], v[30:31] op_sel_hi:[1,0,1]
	v_mul_f32_e32 v28, v13, v5
	ds_read2st64_b64 v[12:15], v27 offset0:16 offset1:32
	s_waitcnt lgkmcnt(1)
	v_pk_add_f32 v[6:7], v[24:25], v[6:7] neg_lo:[0,1] neg_hi:[0,1]
	v_xor_b32_e32 v24, 0x80000000, v11
	v_mov_b32_e32 v25, v10
	v_mul_f32_e32 v26, v5, v23
	v_pk_mul_f32 v[24:25], v[28:29], v[24:25] op_sel_hi:[0,1]
	v_pk_fma_f32 v[10:11], v[10:11], v[26:27], v[24:25] op_sel_hi:[1,0,1]
	s_waitcnt lgkmcnt(0)
	v_pk_add_f32 v[6:7], v[6:7], v[10:11] neg_lo:[0,1] neg_hi:[0,1]
	v_xor_b32_e32 v10, 0x80000000, v17
	v_mov_b32_e32 v11, v16
	v_pk_mul_f32 v[10:11], v[4:5], v[10:11] op_sel_hi:[0,1]
	v_pk_fma_f32 v[10:11], v[16:17], v[22:23], v[10:11] op_sel_hi:[1,0,1]
	v_xor_b32_e32 v16, 0x80000000, v15
	v_mov_b32_e32 v17, v14
	v_pk_mul_f32 v[16:17], v[28:29], v[16:17] op_sel_hi:[0,1]
	v_pk_add_f32 v[10:11], v[20:21], v[10:11] neg_lo:[0,1] neg_hi:[0,1]
	v_pk_fma_f32 v[14:15], v[14:15], v[26:27], v[16:17] op_sel_hi:[1,0,1]
	s_barrier
	v_pk_add_f32 v[10:11], v[10:11], v[14:15] neg_lo:[0,1] neg_hi:[0,1]
	v_pk_add_f32 v[14:15], v[18:19], 0 neg_lo:[1,1] neg_hi:[1,1]
	s_nop 0
	v_pk_mov_b32 v[14:15], v[18:19], v[14:15] op_sel:[1,0]
	s_nop 0
	v_pk_mul_f32 v[4:5], v[4:5], v[14:15] op_sel_hi:[0,1]
	v_pk_add_f32 v[14:15], v[12:13], 0 neg_lo:[1,1] neg_hi:[1,1]
	v_pk_fma_f32 v[4:5], v[18:19], v[22:23], v[4:5] op_sel_hi:[1,0,1] neg_lo:[1,0,0] neg_hi:[1,0,0]
	v_pk_mov_b32 v[14:15], v[12:13], v[14:15] op_sel:[1,0]
	s_nop 0
	v_pk_mul_f32 v[14:15], v[28:29], v[14:15] op_sel_hi:[0,1]
	v_pk_fma_f32 v[12:13], v[12:13], v[26:27], v[14:15] op_sel_hi:[1,0,1] neg_lo:[1,0,0] neg_hi:[1,0,0]
	ds_write_b64 v8, v[6:7]
	ds_write_b64 v1, v[10:11] offset:16384
	ds_write_b64 v1, v[4:5]
	ds_write_b64 v9, v[12:13]
	v_max_i32_e32 v4, 4, v0
	v_lshlrev_b32_e32 v16, 3, v4
	v_add_u32_e32 v4, 0x1e0, v16
	s_waitcnt lgkmcnt(0)
	s_barrier
	ds_read2st64_b64 v[4:7], v4 offset0:7 offset1:15
	v_add_u32_e32 v10, 4, v0
	v_min_i32_e32 v10, s0, v10
	v_subrev_u32_e32 v18, 32, v16
	v_lshlrev_b32_e32 v27, 3, v10
	s_waitcnt lgkmcnt(0)
	v_mul_f32_e32 v11, v5, v5
	v_fmac_f32_e32 v11, v4, v4
	v_div_scale_f32 v12, s[6:7], v11, v11, 1.0
	v_rcp_f32_e32 v13, v12
	ds_read_b64 v[14:15], v1
	v_xor_b32_e32 v30, 0x80000000, v7
	v_mov_b32_e32 v31, v6
	v_fma_f32 v17, -v12, v13, 1.0
	v_fmac_f32_e32 v13, v17, v13
	v_div_scale_f32 v17, vcc, 1.0, v11, 1.0
	v_mul_f32_e32 v19, v17, v13
	v_fma_f32 v20, -v12, v19, v17
	v_fmac_f32_e32 v19, v20, v13
	v_fma_f32 v12, -v12, v19, v17
	v_div_fmas_f32 v12, v12, v13, v19
	v_div_fixup_f32 v23, v12, v11, 1.0
	ds_read2st64_b64 v[10:13], v27 offset1:8
	ds_read_b64 v[16:17], v16 offset:16352
	ds_read_b64 v[18:19], v18
	ds_read_b64 v[20:21], v1 offset:16384
	s_waitcnt lgkmcnt(4)
	v_mul_f32_e32 v22, v5, v15
	s_waitcnt lgkmcnt(3)
	v_mul_f32_e32 v24, v13, v13
	v_fmac_f32_e32 v24, v12, v12
	v_div_scale_f32 v25, s[6:7], v24, v24, 1.0
	v_rcp_f32_e32 v26, v25
	v_mul_f32_e64 v5, v5, -v14
	v_fmac_f32_e32 v5, v15, v4
	v_fmac_f32_e32 v22, v14, v4
	v_mul_f32_e32 v4, v5, v23
	v_fma_f32 v5, -v25, v26, 1.0
	v_fmac_f32_e32 v26, v5, v26
	v_div_scale_f32 v5, vcc, 1.0, v24, 1.0
	v_mul_f32_e32 v22, v23, v22
	v_mul_f32_e32 v23, v5, v26
	v_fma_f32 v28, -v25, v23, v5
	ds_read_b64 v[14:15], v9
	v_fmac_f32_e32 v23, v28, v26
	v_fma_f32 v5, -v25, v23, v5
	v_div_fmas_f32 v5, v5, v26, v23
	v_div_fixup_f32 v5, v5, v24, 1.0
	ds_read_b64 v[24:25], v8
	s_waitcnt lgkmcnt(1)
	v_mul_f32_e32 v23, v13, v15
	v_fmac_f32_e32 v23, v14, v12
	v_mul_f32_e64 v13, v13, -v14
	v_pk_mul_f32 v[30:31], v[4:5], v[30:31] op_sel_hi:[0,1]
	v_fmac_f32_e32 v13, v15, v12
	v_pk_fma_f32 v[6:7], v[6:7], v[22:23], v[30:31] op_sel_hi:[1,0,1]
	v_mul_f32_e32 v28, v13, v5
	ds_read2st64_b64 v[12:15], v27 offset0:16 offset1:32
	s_waitcnt lgkmcnt(1)
	v_pk_add_f32 v[6:7], v[24:25], v[6:7] neg_lo:[0,1] neg_hi:[0,1]
	v_xor_b32_e32 v24, 0x80000000, v11
	v_mov_b32_e32 v25, v10
	v_mul_f32_e32 v26, v5, v23
	v_pk_mul_f32 v[24:25], v[28:29], v[24:25] op_sel_hi:[0,1]
	v_pk_fma_f32 v[10:11], v[10:11], v[26:27], v[24:25] op_sel_hi:[1,0,1]
	s_waitcnt lgkmcnt(0)
	v_pk_add_f32 v[6:7], v[6:7], v[10:11] neg_lo:[0,1] neg_hi:[0,1]
	v_xor_b32_e32 v10, 0x80000000, v17
	v_mov_b32_e32 v11, v16
	v_pk_mul_f32 v[10:11], v[4:5], v[10:11] op_sel_hi:[0,1]
	v_pk_fma_f32 v[10:11], v[16:17], v[22:23], v[10:11] op_sel_hi:[1,0,1]
	v_xor_b32_e32 v16, 0x80000000, v15
	v_mov_b32_e32 v17, v14
	v_pk_mul_f32 v[16:17], v[28:29], v[16:17] op_sel_hi:[0,1]
	v_pk_add_f32 v[10:11], v[20:21], v[10:11] neg_lo:[0,1] neg_hi:[0,1]
	v_pk_fma_f32 v[14:15], v[14:15], v[26:27], v[16:17] op_sel_hi:[1,0,1]
	s_barrier
	v_pk_add_f32 v[10:11], v[10:11], v[14:15] neg_lo:[0,1] neg_hi:[0,1]
	v_pk_add_f32 v[14:15], v[18:19], 0 neg_lo:[1,1] neg_hi:[1,1]
	s_nop 0
	v_pk_mov_b32 v[14:15], v[18:19], v[14:15] op_sel:[1,0]
	s_nop 0
	v_pk_mul_f32 v[4:5], v[4:5], v[14:15] op_sel_hi:[0,1]
	v_pk_add_f32 v[14:15], v[12:13], 0 neg_lo:[1,1] neg_hi:[1,1]
	v_pk_fma_f32 v[4:5], v[18:19], v[22:23], v[4:5] op_sel_hi:[1,0,1] neg_lo:[1,0,0] neg_hi:[1,0,0]
	v_pk_mov_b32 v[14:15], v[12:13], v[14:15] op_sel:[1,0]
	s_nop 0
	v_pk_mul_f32 v[14:15], v[28:29], v[14:15] op_sel_hi:[0,1]
	v_pk_fma_f32 v[12:13], v[12:13], v[26:27], v[14:15] op_sel_hi:[1,0,1] neg_lo:[1,0,0] neg_hi:[1,0,0]
	ds_write_b64 v8, v[6:7]
	ds_write_b64 v1, v[10:11] offset:16384
	ds_write_b64 v1, v[4:5]
	ds_write_b64 v9, v[12:13]
	v_max_i32_e32 v4, 8, v0
	v_lshlrev_b32_e32 v16, 3, v4
	v_add_u32_e32 v4, 0x1c0, v16
	s_waitcnt lgkmcnt(0)
	s_barrier
	ds_read2st64_b64 v[4:7], v4 offset0:7 offset1:15
	v_add_u32_e32 v10, 8, v0
	v_min_i32_e32 v10, s0, v10
	v_subrev_u32_e32 v18, 64, v16
	v_lshlrev_b32_e32 v27, 3, v10
	s_waitcnt lgkmcnt(0)
	v_mul_f32_e32 v11, v5, v5
	v_fmac_f32_e32 v11, v4, v4
	v_div_scale_f32 v12, s[6:7], v11, v11, 1.0
	v_rcp_f32_e32 v13, v12
	ds_read_b64 v[14:15], v1
	v_xor_b32_e32 v30, 0x80000000, v7
	v_mov_b32_e32 v31, v6
	v_fma_f32 v17, -v12, v13, 1.0
	v_fmac_f32_e32 v13, v17, v13
	v_div_scale_f32 v17, vcc, 1.0, v11, 1.0
	v_mul_f32_e32 v19, v17, v13
	v_fma_f32 v20, -v12, v19, v17
	v_fmac_f32_e32 v19, v20, v13
	v_fma_f32 v12, -v12, v19, v17
	v_div_fmas_f32 v12, v12, v13, v19
	v_div_fixup_f32 v23, v12, v11, 1.0
	ds_read2st64_b64 v[10:13], v27 offset1:8
	ds_read_b64 v[16:17], v16 offset:16320
	ds_read_b64 v[18:19], v18
	ds_read_b64 v[20:21], v1 offset:16384
	s_waitcnt lgkmcnt(4)
	v_mul_f32_e32 v22, v5, v15
	s_waitcnt lgkmcnt(3)
	v_mul_f32_e32 v24, v13, v13
	v_fmac_f32_e32 v24, v12, v12
	v_div_scale_f32 v25, s[6:7], v24, v24, 1.0
	v_rcp_f32_e32 v26, v25
	v_mul_f32_e64 v5, v5, -v14
	v_fmac_f32_e32 v5, v15, v4
	v_fmac_f32_e32 v22, v14, v4
	v_mul_f32_e32 v4, v5, v23
	v_fma_f32 v5, -v25, v26, 1.0
	v_fmac_f32_e32 v26, v5, v26
	v_div_scale_f32 v5, vcc, 1.0, v24, 1.0
	v_mul_f32_e32 v22, v23, v22
	v_mul_f32_e32 v23, v5, v26
	v_fma_f32 v28, -v25, v23, v5
	ds_read_b64 v[14:15], v9
	v_fmac_f32_e32 v23, v28, v26
	v_fma_f32 v5, -v25, v23, v5
	v_div_fmas_f32 v5, v5, v26, v23
	v_div_fixup_f32 v5, v5, v24, 1.0
	ds_read_b64 v[24:25], v8
	s_waitcnt lgkmcnt(1)
	v_mul_f32_e32 v23, v13, v15
	v_fmac_f32_e32 v23, v14, v12
	v_mul_f32_e64 v13, v13, -v14
	v_pk_mul_f32 v[30:31], v[4:5], v[30:31] op_sel_hi:[0,1]
	v_fmac_f32_e32 v13, v15, v12
	v_pk_fma_f32 v[6:7], v[6:7], v[22:23], v[30:31] op_sel_hi:[1,0,1]
	v_mul_f32_e32 v28, v13, v5
	ds_read2st64_b64 v[12:15], v27 offset0:16 offset1:32
	s_waitcnt lgkmcnt(1)
	v_pk_add_f32 v[6:7], v[24:25], v[6:7] neg_lo:[0,1] neg_hi:[0,1]
	v_xor_b32_e32 v24, 0x80000000, v11
	v_mov_b32_e32 v25, v10
	v_mul_f32_e32 v26, v5, v23
	v_pk_mul_f32 v[24:25], v[28:29], v[24:25] op_sel_hi:[0,1]
	v_pk_fma_f32 v[10:11], v[10:11], v[26:27], v[24:25] op_sel_hi:[1,0,1]
	s_waitcnt lgkmcnt(0)
	v_pk_add_f32 v[6:7], v[6:7], v[10:11] neg_lo:[0,1] neg_hi:[0,1]
	v_xor_b32_e32 v10, 0x80000000, v17
	v_mov_b32_e32 v11, v16
	v_pk_mul_f32 v[10:11], v[4:5], v[10:11] op_sel_hi:[0,1]
	v_pk_fma_f32 v[10:11], v[16:17], v[22:23], v[10:11] op_sel_hi:[1,0,1]
	v_xor_b32_e32 v16, 0x80000000, v15
	v_mov_b32_e32 v17, v14
	v_pk_mul_f32 v[16:17], v[28:29], v[16:17] op_sel_hi:[0,1]
	v_pk_add_f32 v[10:11], v[20:21], v[10:11] neg_lo:[0,1] neg_hi:[0,1]
	v_pk_fma_f32 v[14:15], v[14:15], v[26:27], v[16:17] op_sel_hi:[1,0,1]
	s_barrier
	v_pk_add_f32 v[10:11], v[10:11], v[14:15] neg_lo:[0,1] neg_hi:[0,1]
	v_pk_add_f32 v[14:15], v[18:19], 0 neg_lo:[1,1] neg_hi:[1,1]
	s_nop 0
	v_pk_mov_b32 v[14:15], v[18:19], v[14:15] op_sel:[1,0]
	s_nop 0
	v_pk_mul_f32 v[4:5], v[4:5], v[14:15] op_sel_hi:[0,1]
	v_pk_add_f32 v[14:15], v[12:13], 0 neg_lo:[1,1] neg_hi:[1,1]
	v_pk_fma_f32 v[4:5], v[18:19], v[22:23], v[4:5] op_sel_hi:[1,0,1] neg_lo:[1,0,0] neg_hi:[1,0,0]
	v_pk_mov_b32 v[14:15], v[12:13], v[14:15] op_sel:[1,0]
	s_nop 0
	v_pk_mul_f32 v[14:15], v[28:29], v[14:15] op_sel_hi:[0,1]
	v_pk_fma_f32 v[12:13], v[12:13], v[26:27], v[14:15] op_sel_hi:[1,0,1] neg_lo:[1,0,0] neg_hi:[1,0,0]
	ds_write_b64 v8, v[6:7]
	ds_write_b64 v1, v[10:11] offset:16384
	ds_write_b64 v1, v[4:5]
	ds_write_b64 v9, v[12:13]
	v_max_i32_e32 v4, 16, v0
	v_lshlrev_b32_e32 v16, 3, v4
	v_add_u32_e32 v4, 0x180, v16
	s_waitcnt lgkmcnt(0)
	s_barrier
	ds_read2st64_b64 v[4:7], v4 offset0:7 offset1:15
	v_add_u32_e32 v10, 16, v0
	v_min_i32_e32 v10, s0, v10
	v_add_u32_e32 v18, 0xffffff80, v16
	v_lshlrev_b32_e32 v27, 3, v10
	s_waitcnt lgkmcnt(0)
	v_mul_f32_e32 v11, v5, v5
	v_fmac_f32_e32 v11, v4, v4
	v_div_scale_f32 v12, s[6:7], v11, v11, 1.0
	v_rcp_f32_e32 v13, v12
	ds_read_b64 v[14:15], v1
	v_xor_b32_e32 v30, 0x80000000, v7
	v_mov_b32_e32 v31, v6
	v_fma_f32 v17, -v12, v13, 1.0
	v_fmac_f32_e32 v13, v17, v13
	v_div_scale_f32 v17, vcc, 1.0, v11, 1.0
	v_mul_f32_e32 v19, v17, v13
	v_fma_f32 v20, -v12, v19, v17
	v_fmac_f32_e32 v19, v20, v13
	v_fma_f32 v12, -v12, v19, v17
	v_div_fmas_f32 v12, v12, v13, v19
	v_div_fixup_f32 v23, v12, v11, 1.0
	ds_read2st64_b64 v[10:13], v27 offset1:8
	ds_read_b64 v[16:17], v16 offset:16256
	ds_read_b64 v[18:19], v18
	ds_read_b64 v[20:21], v1 offset:16384
	s_waitcnt lgkmcnt(4)
	v_mul_f32_e32 v22, v5, v15
	s_waitcnt lgkmcnt(3)
	v_mul_f32_e32 v24, v13, v13
	v_fmac_f32_e32 v24, v12, v12
	v_div_scale_f32 v25, s[6:7], v24, v24, 1.0
	v_rcp_f32_e32 v26, v25
	v_mul_f32_e64 v5, v5, -v14
	v_fmac_f32_e32 v5, v15, v4
	v_fmac_f32_e32 v22, v14, v4
	v_mul_f32_e32 v4, v5, v23
	v_fma_f32 v5, -v25, v26, 1.0
	v_fmac_f32_e32 v26, v5, v26
	v_div_scale_f32 v5, vcc, 1.0, v24, 1.0
	v_mul_f32_e32 v22, v23, v22
	v_mul_f32_e32 v23, v5, v26
	v_fma_f32 v28, -v25, v23, v5
	ds_read_b64 v[14:15], v9
	v_fmac_f32_e32 v23, v28, v26
	v_fma_f32 v5, -v25, v23, v5
	v_div_fmas_f32 v5, v5, v26, v23
	v_div_fixup_f32 v5, v5, v24, 1.0
	ds_read_b64 v[24:25], v8
	s_waitcnt lgkmcnt(1)
	v_mul_f32_e32 v23, v13, v15
	v_fmac_f32_e32 v23, v14, v12
	v_mul_f32_e64 v13, v13, -v14
	v_pk_mul_f32 v[30:31], v[4:5], v[30:31] op_sel_hi:[0,1]
	v_fmac_f32_e32 v13, v15, v12
	v_pk_fma_f32 v[6:7], v[6:7], v[22:23], v[30:31] op_sel_hi:[1,0,1]
	v_mul_f32_e32 v28, v13, v5
	ds_read2st64_b64 v[12:15], v27 offset0:16 offset1:32
	s_waitcnt lgkmcnt(1)
	v_pk_add_f32 v[6:7], v[24:25], v[6:7] neg_lo:[0,1] neg_hi:[0,1]
	v_xor_b32_e32 v24, 0x80000000, v11
	v_mov_b32_e32 v25, v10
	v_mul_f32_e32 v26, v5, v23
	v_pk_mul_f32 v[24:25], v[28:29], v[24:25] op_sel_hi:[0,1]
	v_pk_fma_f32 v[10:11], v[10:11], v[26:27], v[24:25] op_sel_hi:[1,0,1]
	s_waitcnt lgkmcnt(0)
	v_pk_add_f32 v[6:7], v[6:7], v[10:11] neg_lo:[0,1] neg_hi:[0,1]
	v_xor_b32_e32 v10, 0x80000000, v17
	v_mov_b32_e32 v11, v16
	v_pk_mul_f32 v[10:11], v[4:5], v[10:11] op_sel_hi:[0,1]
	v_pk_fma_f32 v[10:11], v[16:17], v[22:23], v[10:11] op_sel_hi:[1,0,1]
	v_xor_b32_e32 v16, 0x80000000, v15
	v_mov_b32_e32 v17, v14
	v_pk_mul_f32 v[16:17], v[28:29], v[16:17] op_sel_hi:[0,1]
	v_pk_add_f32 v[10:11], v[20:21], v[10:11] neg_lo:[0,1] neg_hi:[0,1]
	v_pk_fma_f32 v[14:15], v[14:15], v[26:27], v[16:17] op_sel_hi:[1,0,1]
	s_barrier
	v_pk_add_f32 v[10:11], v[10:11], v[14:15] neg_lo:[0,1] neg_hi:[0,1]
	v_pk_add_f32 v[14:15], v[18:19], 0 neg_lo:[1,1] neg_hi:[1,1]
	s_nop 0
	v_pk_mov_b32 v[14:15], v[18:19], v[14:15] op_sel:[1,0]
	s_nop 0
	v_pk_mul_f32 v[4:5], v[4:5], v[14:15] op_sel_hi:[0,1]
	v_pk_add_f32 v[14:15], v[12:13], 0 neg_lo:[1,1] neg_hi:[1,1]
	v_pk_fma_f32 v[4:5], v[18:19], v[22:23], v[4:5] op_sel_hi:[1,0,1] neg_lo:[1,0,0] neg_hi:[1,0,0]
	v_pk_mov_b32 v[14:15], v[12:13], v[14:15] op_sel:[1,0]
	s_nop 0
	v_pk_mul_f32 v[14:15], v[28:29], v[14:15] op_sel_hi:[0,1]
	v_pk_fma_f32 v[12:13], v[12:13], v[26:27], v[14:15] op_sel_hi:[1,0,1] neg_lo:[1,0,0] neg_hi:[1,0,0]
	ds_write_b64 v8, v[6:7]
	ds_write_b64 v1, v[10:11] offset:16384
	ds_write_b64 v1, v[4:5]
	ds_write_b64 v9, v[12:13]
	v_max_i32_e32 v4, 32, v0
	v_lshlrev_b32_e32 v16, 3, v4
	v_add_u32_e32 v4, 0x100, v16
	s_waitcnt lgkmcnt(0)
	s_barrier
	ds_read2st64_b64 v[4:7], v4 offset0:7 offset1:15
	v_add_u32_e32 v10, 32, v0
	v_min_i32_e32 v10, s0, v10
	v_add_u32_e32 v18, 0xffffff00, v16
	v_lshlrev_b32_e32 v27, 3, v10
	s_waitcnt lgkmcnt(0)
	v_mul_f32_e32 v11, v5, v5
	v_fmac_f32_e32 v11, v4, v4
	v_div_scale_f32 v12, s[6:7], v11, v11, 1.0
	v_rcp_f32_e32 v13, v12
	ds_read_b64 v[14:15], v1
	v_xor_b32_e32 v30, 0x80000000, v7
	v_mov_b32_e32 v31, v6
	v_fma_f32 v17, -v12, v13, 1.0
	v_fmac_f32_e32 v13, v17, v13
	v_div_scale_f32 v17, vcc, 1.0, v11, 1.0
	v_mul_f32_e32 v19, v17, v13
	v_fma_f32 v20, -v12, v19, v17
	v_fmac_f32_e32 v19, v20, v13
	v_fma_f32 v12, -v12, v19, v17
	v_div_fmas_f32 v12, v12, v13, v19
	v_div_fixup_f32 v23, v12, v11, 1.0
	ds_read2st64_b64 v[10:13], v27 offset1:8
	ds_read_b64 v[16:17], v16 offset:16128
	ds_read_b64 v[18:19], v18
	ds_read_b64 v[20:21], v1 offset:16384
	s_waitcnt lgkmcnt(4)
	v_mul_f32_e32 v22, v5, v15
	s_waitcnt lgkmcnt(3)
	v_mul_f32_e32 v24, v13, v13
	v_fmac_f32_e32 v24, v12, v12
	v_div_scale_f32 v25, s[6:7], v24, v24, 1.0
	v_rcp_f32_e32 v26, v25
	v_mul_f32_e64 v5, v5, -v14
	v_fmac_f32_e32 v5, v15, v4
	v_fmac_f32_e32 v22, v14, v4
	v_mul_f32_e32 v4, v5, v23
	v_fma_f32 v5, -v25, v26, 1.0
	v_fmac_f32_e32 v26, v5, v26
	v_div_scale_f32 v5, vcc, 1.0, v24, 1.0
	v_mul_f32_e32 v22, v23, v22
	v_mul_f32_e32 v23, v5, v26
	v_fma_f32 v28, -v25, v23, v5
	ds_read_b64 v[14:15], v9
	v_fmac_f32_e32 v23, v28, v26
	v_fma_f32 v5, -v25, v23, v5
	v_div_fmas_f32 v5, v5, v26, v23
	v_div_fixup_f32 v5, v5, v24, 1.0
	ds_read_b64 v[24:25], v8
	s_waitcnt lgkmcnt(1)
	v_mul_f32_e32 v23, v13, v15
	v_fmac_f32_e32 v23, v14, v12
	v_mul_f32_e64 v13, v13, -v14
	v_pk_mul_f32 v[30:31], v[4:5], v[30:31] op_sel_hi:[0,1]
	v_fmac_f32_e32 v13, v15, v12
	v_pk_fma_f32 v[6:7], v[6:7], v[22:23], v[30:31] op_sel_hi:[1,0,1]
	v_mul_f32_e32 v28, v13, v5
	ds_read2st64_b64 v[12:15], v27 offset0:16 offset1:32
	s_waitcnt lgkmcnt(1)
	v_pk_add_f32 v[6:7], v[24:25], v[6:7] neg_lo:[0,1] neg_hi:[0,1]
	v_xor_b32_e32 v24, 0x80000000, v11
	v_mov_b32_e32 v25, v10
	v_mul_f32_e32 v26, v5, v23
	v_pk_mul_f32 v[24:25], v[28:29], v[24:25] op_sel_hi:[0,1]
	v_pk_fma_f32 v[10:11], v[10:11], v[26:27], v[24:25] op_sel_hi:[1,0,1]
	s_waitcnt lgkmcnt(0)
	v_pk_add_f32 v[6:7], v[6:7], v[10:11] neg_lo:[0,1] neg_hi:[0,1]
	v_xor_b32_e32 v10, 0x80000000, v17
	v_mov_b32_e32 v11, v16
	v_pk_mul_f32 v[10:11], v[4:5], v[10:11] op_sel_hi:[0,1]
	v_pk_fma_f32 v[10:11], v[16:17], v[22:23], v[10:11] op_sel_hi:[1,0,1]
	v_xor_b32_e32 v16, 0x80000000, v15
	v_mov_b32_e32 v17, v14
	v_pk_mul_f32 v[16:17], v[28:29], v[16:17] op_sel_hi:[0,1]
	v_pk_add_f32 v[10:11], v[20:21], v[10:11] neg_lo:[0,1] neg_hi:[0,1]
	v_pk_fma_f32 v[14:15], v[14:15], v[26:27], v[16:17] op_sel_hi:[1,0,1]
	s_barrier
	v_pk_add_f32 v[10:11], v[10:11], v[14:15] neg_lo:[0,1] neg_hi:[0,1]
	v_pk_add_f32 v[14:15], v[18:19], 0 neg_lo:[1,1] neg_hi:[1,1]
	s_nop 0
	v_pk_mov_b32 v[14:15], v[18:19], v[14:15] op_sel:[1,0]
	s_nop 0
	v_pk_mul_f32 v[4:5], v[4:5], v[14:15] op_sel_hi:[0,1]
	v_pk_add_f32 v[14:15], v[12:13], 0 neg_lo:[1,1] neg_hi:[1,1]
	v_pk_fma_f32 v[4:5], v[18:19], v[22:23], v[4:5] op_sel_hi:[1,0,1] neg_lo:[1,0,0] neg_hi:[1,0,0]
	v_pk_mov_b32 v[14:15], v[12:13], v[14:15] op_sel:[1,0]
	s_nop 0
	v_pk_mul_f32 v[14:15], v[28:29], v[14:15] op_sel_hi:[0,1]
	v_pk_fma_f32 v[12:13], v[12:13], v[26:27], v[14:15] op_sel_hi:[1,0,1] neg_lo:[1,0,0] neg_hi:[1,0,0]
	ds_write_b64 v8, v[6:7]
	ds_write_b64 v1, v[10:11] offset:16384
	ds_write_b64 v1, v[4:5]
	ds_write_b64 v9, v[12:13]
	v_max_i32_e32 v4, 64, v0
	v_lshlrev_b32_e32 v16, 3, v4
	s_waitcnt lgkmcnt(0)
	s_barrier
	ds_read2st64_b64 v[4:7], v16 offset0:7 offset1:15
	v_add_u32_e32 v10, 64, v0
	v_min_i32_e32 v10, s0, v10
	v_add_u32_e32 v18, 0xfffffe00, v16
	v_lshlrev_b32_e32 v27, 3, v10
	s_waitcnt lgkmcnt(0)
	v_mul_f32_e32 v11, v5, v5
	v_fmac_f32_e32 v11, v4, v4
	v_div_scale_f32 v12, s[6:7], v11, v11, 1.0
	v_rcp_f32_e32 v13, v12
	ds_read_b64 v[14:15], v1
	v_xor_b32_e32 v30, 0x80000000, v7
	v_mov_b32_e32 v31, v6
	v_fma_f32 v17, -v12, v13, 1.0
	v_fmac_f32_e32 v13, v17, v13
	v_div_scale_f32 v17, vcc, 1.0, v11, 1.0
	v_mul_f32_e32 v19, v17, v13
	v_fma_f32 v20, -v12, v19, v17
	v_fmac_f32_e32 v19, v20, v13
	v_fma_f32 v12, -v12, v19, v17
	v_div_fmas_f32 v12, v12, v13, v19
	v_div_fixup_f32 v23, v12, v11, 1.0
	ds_read2st64_b64 v[10:13], v27 offset1:8
	ds_read_b64 v[16:17], v16 offset:15872
	ds_read_b64 v[18:19], v18
	ds_read_b64 v[20:21], v1 offset:16384
	s_waitcnt lgkmcnt(4)
	v_mul_f32_e32 v22, v5, v15
	s_waitcnt lgkmcnt(3)
	v_mul_f32_e32 v24, v13, v13
	v_fmac_f32_e32 v24, v12, v12
	v_div_scale_f32 v25, s[6:7], v24, v24, 1.0
	v_rcp_f32_e32 v26, v25
	v_mul_f32_e64 v5, v5, -v14
	v_fmac_f32_e32 v5, v15, v4
	v_fmac_f32_e32 v22, v14, v4
	v_mul_f32_e32 v4, v5, v23
	v_fma_f32 v5, -v25, v26, 1.0
	v_fmac_f32_e32 v26, v5, v26
	v_div_scale_f32 v5, vcc, 1.0, v24, 1.0
	v_mul_f32_e32 v22, v23, v22
	v_mul_f32_e32 v23, v5, v26
	v_fma_f32 v28, -v25, v23, v5
	ds_read_b64 v[14:15], v9
	v_fmac_f32_e32 v23, v28, v26
	v_fma_f32 v5, -v25, v23, v5
	v_div_fmas_f32 v5, v5, v26, v23
	v_div_fixup_f32 v5, v5, v24, 1.0
	ds_read_b64 v[24:25], v8
	s_waitcnt lgkmcnt(1)
	v_mul_f32_e32 v23, v13, v15
	v_fmac_f32_e32 v23, v14, v12
	v_mul_f32_e64 v13, v13, -v14
	v_pk_mul_f32 v[30:31], v[4:5], v[30:31] op_sel_hi:[0,1]
	v_fmac_f32_e32 v13, v15, v12
	v_pk_fma_f32 v[6:7], v[6:7], v[22:23], v[30:31] op_sel_hi:[1,0,1]
	v_mul_f32_e32 v28, v13, v5
	ds_read2st64_b64 v[12:15], v27 offset0:16 offset1:32
	s_waitcnt lgkmcnt(1)
	v_pk_add_f32 v[6:7], v[24:25], v[6:7] neg_lo:[0,1] neg_hi:[0,1]
	v_xor_b32_e32 v24, 0x80000000, v11
	v_mov_b32_e32 v25, v10
	v_mul_f32_e32 v26, v5, v23
	v_pk_mul_f32 v[24:25], v[28:29], v[24:25] op_sel_hi:[0,1]
	v_pk_fma_f32 v[10:11], v[10:11], v[26:27], v[24:25] op_sel_hi:[1,0,1]
	s_waitcnt lgkmcnt(0)
	v_pk_add_f32 v[6:7], v[6:7], v[10:11] neg_lo:[0,1] neg_hi:[0,1]
	v_xor_b32_e32 v10, 0x80000000, v17
	v_mov_b32_e32 v11, v16
	v_pk_mul_f32 v[10:11], v[4:5], v[10:11] op_sel_hi:[0,1]
	v_pk_fma_f32 v[10:11], v[16:17], v[22:23], v[10:11] op_sel_hi:[1,0,1]
	v_xor_b32_e32 v16, 0x80000000, v15
	v_mov_b32_e32 v17, v14
	v_pk_mul_f32 v[16:17], v[28:29], v[16:17] op_sel_hi:[0,1]
	v_pk_add_f32 v[10:11], v[20:21], v[10:11] neg_lo:[0,1] neg_hi:[0,1]
	v_pk_fma_f32 v[14:15], v[14:15], v[26:27], v[16:17] op_sel_hi:[1,0,1]
	s_barrier
	v_pk_add_f32 v[10:11], v[10:11], v[14:15] neg_lo:[0,1] neg_hi:[0,1]
	v_pk_add_f32 v[14:15], v[18:19], 0 neg_lo:[1,1] neg_hi:[1,1]
	s_nop 0
	v_pk_mov_b32 v[14:15], v[18:19], v[14:15] op_sel:[1,0]
	s_nop 0
	v_pk_mul_f32 v[4:5], v[4:5], v[14:15] op_sel_hi:[0,1]
	v_pk_add_f32 v[14:15], v[12:13], 0 neg_lo:[1,1] neg_hi:[1,1]
	v_pk_fma_f32 v[4:5], v[18:19], v[22:23], v[4:5] op_sel_hi:[1,0,1] neg_lo:[1,0,0] neg_hi:[1,0,0]
	v_pk_mov_b32 v[14:15], v[12:13], v[14:15] op_sel:[1,0]
	s_nop 0
	v_pk_mul_f32 v[14:15], v[28:29], v[14:15] op_sel_hi:[0,1]
	v_pk_fma_f32 v[12:13], v[12:13], v[26:27], v[14:15] op_sel_hi:[1,0,1] neg_lo:[1,0,0] neg_hi:[1,0,0]
	ds_write_b64 v8, v[6:7]
	ds_write_b64 v1, v[10:11] offset:16384
	ds_write_b64 v1, v[4:5]
	ds_write_b64 v9, v[12:13]
	v_max_i32_e32 v4, 0x80, v0
	v_lshlrev_b32_e32 v16, 3, v4
	s_waitcnt lgkmcnt(0)
	s_barrier
	ds_read2st64_b64 v[4:7], v16 offset0:6 offset1:14
	v_add_u32_e32 v10, 0x80, v0
	v_min_i32_e32 v10, s0, v10
	v_add_u32_e32 v18, 0xfffffc00, v16
	v_lshlrev_b32_e32 v27, 3, v10
	s_waitcnt lgkmcnt(0)
	v_mul_f32_e32 v11, v5, v5
	v_fmac_f32_e32 v11, v4, v4
	v_div_scale_f32 v12, s[6:7], v11, v11, 1.0
	v_rcp_f32_e32 v13, v12
	ds_read_b64 v[14:15], v1
	v_xor_b32_e32 v30, 0x80000000, v7
	v_mov_b32_e32 v31, v6
	v_fma_f32 v17, -v12, v13, 1.0
	v_fmac_f32_e32 v13, v17, v13
	v_div_scale_f32 v17, vcc, 1.0, v11, 1.0
	v_mul_f32_e32 v19, v17, v13
	v_fma_f32 v20, -v12, v19, v17
	v_fmac_f32_e32 v19, v20, v13
	v_fma_f32 v12, -v12, v19, v17
	v_div_fmas_f32 v12, v12, v13, v19
	v_div_fixup_f32 v23, v12, v11, 1.0
	ds_read2st64_b64 v[10:13], v27 offset1:8
	ds_read_b64 v[16:17], v16 offset:15360
	ds_read_b64 v[18:19], v18
	ds_read_b64 v[20:21], v1 offset:16384
	s_waitcnt lgkmcnt(4)
	v_mul_f32_e32 v22, v5, v15
	s_waitcnt lgkmcnt(3)
	v_mul_f32_e32 v24, v13, v13
	v_fmac_f32_e32 v24, v12, v12
	v_div_scale_f32 v25, s[0:1], v24, v24, 1.0
	v_rcp_f32_e32 v26, v25
	v_mul_f32_e64 v5, v5, -v14
	v_fmac_f32_e32 v5, v15, v4
	v_fmac_f32_e32 v22, v14, v4
	v_mul_f32_e32 v4, v5, v23
	v_fma_f32 v5, -v25, v26, 1.0
	v_fmac_f32_e32 v26, v5, v26
	v_div_scale_f32 v5, vcc, 1.0, v24, 1.0
	v_mul_f32_e32 v22, v23, v22
	v_mul_f32_e32 v23, v5, v26
	v_fma_f32 v28, -v25, v23, v5
	ds_read_b64 v[14:15], v9
	v_fmac_f32_e32 v23, v28, v26
	v_fma_f32 v5, -v25, v23, v5
	v_div_fmas_f32 v5, v5, v26, v23
	v_div_fixup_f32 v5, v5, v24, 1.0
	ds_read_b64 v[24:25], v8
	s_waitcnt lgkmcnt(1)
	v_mul_f32_e32 v23, v13, v15
	v_fmac_f32_e32 v23, v14, v12
	v_mul_f32_e64 v13, v13, -v14
	v_pk_mul_f32 v[30:31], v[4:5], v[30:31] op_sel_hi:[0,1]
	v_fmac_f32_e32 v13, v15, v12
	v_pk_fma_f32 v[6:7], v[6:7], v[22:23], v[30:31] op_sel_hi:[1,0,1]
	v_mul_f32_e32 v28, v13, v5
	ds_read2st64_b64 v[12:15], v27 offset0:16 offset1:32
	s_waitcnt lgkmcnt(1)
	v_pk_add_f32 v[6:7], v[24:25], v[6:7] neg_lo:[0,1] neg_hi:[0,1]
	v_xor_b32_e32 v24, 0x80000000, v11
	v_mov_b32_e32 v25, v10
	v_mul_f32_e32 v26, v5, v23
	v_pk_mul_f32 v[24:25], v[28:29], v[24:25] op_sel_hi:[0,1]
	v_pk_fma_f32 v[10:11], v[10:11], v[26:27], v[24:25] op_sel_hi:[1,0,1]
	v_cmp_gt_u32_e32 vcc, s9, v0
	v_pk_add_f32 v[6:7], v[6:7], v[10:11] neg_lo:[0,1] neg_hi:[0,1]
	v_xor_b32_e32 v10, 0x80000000, v17
	v_mov_b32_e32 v11, v16
	v_pk_mul_f32 v[10:11], v[4:5], v[10:11] op_sel_hi:[0,1]
	v_pk_fma_f32 v[10:11], v[16:17], v[22:23], v[10:11] op_sel_hi:[1,0,1]
	s_waitcnt lgkmcnt(0)
	v_xor_b32_e32 v16, 0x80000000, v15
	v_mov_b32_e32 v17, v14
	v_pk_mul_f32 v[16:17], v[28:29], v[16:17] op_sel_hi:[0,1]
	v_pk_add_f32 v[10:11], v[20:21], v[10:11] neg_lo:[0,1] neg_hi:[0,1]
	v_pk_fma_f32 v[14:15], v[14:15], v[26:27], v[16:17] op_sel_hi:[1,0,1]
	s_nop 0
	v_pk_add_f32 v[10:11], v[10:11], v[14:15] neg_lo:[0,1] neg_hi:[0,1]
	v_pk_add_f32 v[14:15], v[18:19], 0 neg_lo:[1,1] neg_hi:[1,1]
	s_barrier
	v_pk_mov_b32 v[14:15], v[18:19], v[14:15] op_sel:[1,0]
	s_nop 0
	v_pk_mul_f32 v[4:5], v[4:5], v[14:15] op_sel_hi:[0,1]
	v_pk_add_f32 v[14:15], v[12:13], 0 neg_lo:[1,1] neg_hi:[1,1]
	v_pk_fma_f32 v[4:5], v[18:19], v[22:23], v[4:5] op_sel_hi:[1,0,1] neg_lo:[1,0,0] neg_hi:[1,0,0]
	v_pk_mov_b32 v[14:15], v[12:13], v[14:15] op_sel:[1,0]
	s_nop 0
	v_pk_mul_f32 v[14:15], v[28:29], v[14:15] op_sel_hi:[0,1]
	v_pk_fma_f32 v[12:13], v[12:13], v[26:27], v[14:15] op_sel_hi:[1,0,1] neg_lo:[1,0,0] neg_hi:[1,0,0]
	ds_write_b64 v8, v[6:7]
	ds_write_b64 v1, v[10:11] offset:16384
	ds_write_b64 v1, v[4:5]
	ds_write_b64 v9, v[12:13]
	s_waitcnt lgkmcnt(0)
	s_barrier
	s_and_saveexec_b64 s[0:1], vcc
	s_cbranch_execz .LBB58_14
; %bb.9:
	v_or_b32_e32 v6, 0x100, v0
	v_or_b32_e32 v7, 0x4000, v1
	v_cmp_le_i32_e32 vcc, s8, v6
                                        ; implicit-def: $vgpr4_vgpr5
	s_and_saveexec_b64 s[6:7], vcc
	s_xor_b64 s[6:7], exec, s[6:7]
	s_cbranch_execz .LBB58_11
; %bb.10:
	ds_read_b64 v[4:5], v8
	ds_read_b64 v[6:7], v7
	s_waitcnt lgkmcnt(1)
	v_mul_f32_e32 v10, v5, v5
	v_fmac_f32_e32 v10, v4, v4
	v_div_scale_f32 v11, s[8:9], v10, v10, 1.0
	v_rcp_f32_e32 v12, v11
	v_div_scale_f32 v13, vcc, 1.0, v10, 1.0
	s_waitcnt lgkmcnt(0)
	v_xor_b32_e32 v9, 0x80000000, v6
	v_fma_f32 v14, -v11, v12, 1.0
	v_fmac_f32_e32 v12, v14, v12
	v_mul_f32_e32 v14, v13, v12
	v_fma_f32 v15, -v11, v14, v13
	v_fmac_f32_e32 v14, v15, v12
	v_mov_b32_e32 v8, v7
	v_fma_f32 v11, -v11, v14, v13
	v_div_fmas_f32 v11, v11, v12, v14
	v_pk_mul_f32 v[8:9], v[4:5], v[8:9] op_sel:[1,0]
	v_div_fixup_f32 v10, v11, v10, 1.0
	v_pk_fma_f32 v[4:5], v[6:7], v[4:5], v[8:9] op_sel_hi:[1,0,1]
                                        ; implicit-def: $vgpr8
                                        ; implicit-def: $vgpr9
                                        ; implicit-def: $vgpr7
                                        ; implicit-def: $vgpr6
	s_nop 0
	v_pk_mul_f32 v[4:5], v[10:11], v[4:5] op_sel_hi:[0,1]
.LBB58_11:
	s_andn2_saveexec_b64 s[6:7], s[6:7]
	s_cbranch_execz .LBB58_13
; %bb.12:
	ds_read2st64_b64 v[10:13], v8 offset1:4
	ds_read_b64 v[4:5], v9
	ds_read_b32 v0, v7
	ds_read_b64 v[8:9], v7
	ds_read_b64 v[14:15], v1 offset:2048
	s_waitcnt lgkmcnt(4)
	v_xor_b32_e32 v16, 0x80000000, v13
	s_waitcnt lgkmcnt(3)
	v_xor_b32_e32 v18, 0x80000000, v5
	v_mov_b32_e32 v17, v12
	v_mov_b32_e32 v19, v4
	v_pk_mul_f32 v[20:21], v[10:11], v[16:17] op_sel:[1,0]
	s_waitcnt lgkmcnt(0)
	v_pk_mul_f32 v[22:23], v[14:15], v[18:19] op_sel:[1,0]
	v_pk_fma_f32 v[20:21], v[12:13], v[10:11], v[20:21] op_sel_hi:[1,0,1]
	v_pk_fma_f32 v[22:23], v[4:5], v[14:15], v[22:23] op_sel_hi:[1,0,1]
	s_nop 0
	v_pk_add_f32 v[20:21], v[20:21], v[22:23] neg_lo:[0,1] neg_hi:[0,1]
	ds_read_b32 v22, v7 offset:4
	v_mul_f32_e32 v23, v21, v21
	v_fmac_f32_e32 v23, v20, v20
	v_div_scale_f32 v24, s[8:9], v23, v23, 1.0
	v_rcp_f32_e32 v25, v24
	s_nop 0
	v_fma_f32 v26, -v24, v25, 1.0
	v_fmac_f32_e32 v25, v26, v25
	v_div_scale_f32 v26, vcc, 1.0, v23, 1.0
	v_mul_f32_e32 v27, v26, v25
	v_fma_f32 v28, -v24, v27, v26
	v_fmac_f32_e32 v27, v28, v25
	v_fma_f32 v24, -v24, v27, v26
	v_div_fmas_f32 v24, v24, v25, v27
	ds_read_b32 v26, v7 offset:2052
	ds_read_b32 v28, v7 offset:2048
	ds_read_b64 v[30:31], v7 offset:2048
	v_div_fixup_f32 v23, v24, v23, 1.0
	s_waitcnt lgkmcnt(3)
	v_pk_mul_f32 v[16:17], v[22:23], v[16:17] op_sel_hi:[0,1]
	v_pk_fma_f32 v[12:13], v[12:13], v[0:1], v[16:17] op_sel_hi:[1,0,1]
	s_waitcnt lgkmcnt(2)
	v_pk_mul_f32 v[16:17], v[26:27], v[18:19] op_sel_hi:[0,1]
	s_waitcnt lgkmcnt(1)
	v_pk_fma_f32 v[4:5], v[4:5], v[28:29], v[16:17] op_sel_hi:[1,0,1]
	v_fma_f32 v24, 0, v21, v20
	v_fma_f32 v20, v20, 0, -v21
	v_pk_add_f32 v[4:5], v[12:13], v[4:5] neg_lo:[0,1] neg_hi:[0,1]
	v_mul_f32_e32 v20, v20, v23
	v_xor_b32_e32 v12, 0x80000000, v5
	v_mov_b32_e32 v13, v4
	v_mul_f32_e32 v24, v24, v23
	v_pk_mul_f32 v[12:13], v[20:21], v[12:13] op_sel_hi:[0,1]
	v_pk_fma_f32 v[4:5], v[4:5], v[24:25], v[12:13] op_sel_hi:[1,0,1]
	ds_write_b64 v1, v[4:5] offset:12288
	s_waitcnt lgkmcnt(1)
	v_xor_b32_e32 v4, 0x80000000, v31
	v_mov_b32_e32 v5, v30
	v_pk_mul_f32 v[4:5], v[10:11], v[4:5] op_sel:[1,0]
	v_mov_b32_e32 v0, v6
	v_pk_fma_f32 v[4:5], v[30:31], v[10:11], v[4:5] op_sel_hi:[1,0,1]
	v_xor_b32_e32 v10, 0x80000000, v9
	v_mov_b32_e32 v11, v8
	v_pk_mul_f32 v[10:11], v[14:15], v[10:11] op_sel:[1,0]
	s_nop 0
	v_pk_fma_f32 v[8:9], v[8:9], v[14:15], v[10:11] op_sel_hi:[1,0,1]
	s_nop 0
	v_pk_add_f32 v[4:5], v[4:5], v[8:9] neg_lo:[0,1] neg_hi:[0,1]
	s_nop 0
	v_xor_b32_e32 v8, 0x80000000, v5
	v_mov_b32_e32 v9, v4
	v_pk_mul_f32 v[8:9], v[20:21], v[8:9] op_sel_hi:[0,1]
	v_pk_fma_f32 v[4:5], v[4:5], v[24:25], v[8:9] op_sel_hi:[1,0,1]
.LBB58_13:
	s_or_b64 exec, exec, s[6:7]
	v_lshlrev_b32_e32 v0, 3, v0
	ds_write_b64 v0, v[4:5] offset:12288
.LBB58_14:
	s_or_b64 exec, exec, s[0:1]
	s_waitcnt lgkmcnt(0)
	s_barrier
	s_and_saveexec_b64 s[0:1], s[2:3]
	s_cbranch_execz .LBB58_16
; %bb.15:
	ds_read_b64 v[0:1], v1 offset:12288
	v_lshl_add_u64 v[2:3], v[2:3], 3, s[4:5]
	s_waitcnt lgkmcnt(0)
	global_store_dwordx2 v[2:3], v[0:1], off
.LBB58_16:
	s_endpgm
	.section	.rodata,"a",@progbits
	.p2align	6, 0x0
	.amdhsa_kernel _ZN9rocsparseL44gtsv_nopivot_strided_batch_pcr_shared_kernelILj512E21rocsparse_complex_numIfEEEviiiPKT0_S5_S5_PS3_
		.amdhsa_group_segment_fixed_size 20480
		.amdhsa_private_segment_fixed_size 0
		.amdhsa_kernarg_size 48
		.amdhsa_user_sgpr_count 2
		.amdhsa_user_sgpr_dispatch_ptr 0
		.amdhsa_user_sgpr_queue_ptr 0
		.amdhsa_user_sgpr_kernarg_segment_ptr 1
		.amdhsa_user_sgpr_dispatch_id 0
		.amdhsa_user_sgpr_kernarg_preload_length 0
		.amdhsa_user_sgpr_kernarg_preload_offset 0
		.amdhsa_user_sgpr_private_segment_size 0
		.amdhsa_uses_dynamic_stack 0
		.amdhsa_enable_private_segment 0
		.amdhsa_system_sgpr_workgroup_id_x 1
		.amdhsa_system_sgpr_workgroup_id_y 0
		.amdhsa_system_sgpr_workgroup_id_z 0
		.amdhsa_system_sgpr_workgroup_info 0
		.amdhsa_system_vgpr_workitem_id 0
		.amdhsa_next_free_vgpr 32
		.amdhsa_next_free_sgpr 10
		.amdhsa_accum_offset 32
		.amdhsa_reserve_vcc 1
		.amdhsa_float_round_mode_32 0
		.amdhsa_float_round_mode_16_64 0
		.amdhsa_float_denorm_mode_32 3
		.amdhsa_float_denorm_mode_16_64 3
		.amdhsa_dx10_clamp 1
		.amdhsa_ieee_mode 1
		.amdhsa_fp16_overflow 0
		.amdhsa_tg_split 0
		.amdhsa_exception_fp_ieee_invalid_op 0
		.amdhsa_exception_fp_denorm_src 0
		.amdhsa_exception_fp_ieee_div_zero 0
		.amdhsa_exception_fp_ieee_overflow 0
		.amdhsa_exception_fp_ieee_underflow 0
		.amdhsa_exception_fp_ieee_inexact 0
		.amdhsa_exception_int_div_zero 0
	.end_amdhsa_kernel
	.section	.text._ZN9rocsparseL44gtsv_nopivot_strided_batch_pcr_shared_kernelILj512E21rocsparse_complex_numIfEEEviiiPKT0_S5_S5_PS3_,"axG",@progbits,_ZN9rocsparseL44gtsv_nopivot_strided_batch_pcr_shared_kernelILj512E21rocsparse_complex_numIfEEEviiiPKT0_S5_S5_PS3_,comdat
.Lfunc_end58:
	.size	_ZN9rocsparseL44gtsv_nopivot_strided_batch_pcr_shared_kernelILj512E21rocsparse_complex_numIfEEEviiiPKT0_S5_S5_PS3_, .Lfunc_end58-_ZN9rocsparseL44gtsv_nopivot_strided_batch_pcr_shared_kernelILj512E21rocsparse_complex_numIfEEEviiiPKT0_S5_S5_PS3_
                                        ; -- End function
	.set _ZN9rocsparseL44gtsv_nopivot_strided_batch_pcr_shared_kernelILj512E21rocsparse_complex_numIfEEEviiiPKT0_S5_S5_PS3_.num_vgpr, 32
	.set _ZN9rocsparseL44gtsv_nopivot_strided_batch_pcr_shared_kernelILj512E21rocsparse_complex_numIfEEEviiiPKT0_S5_S5_PS3_.num_agpr, 0
	.set _ZN9rocsparseL44gtsv_nopivot_strided_batch_pcr_shared_kernelILj512E21rocsparse_complex_numIfEEEviiiPKT0_S5_S5_PS3_.numbered_sgpr, 10
	.set _ZN9rocsparseL44gtsv_nopivot_strided_batch_pcr_shared_kernelILj512E21rocsparse_complex_numIfEEEviiiPKT0_S5_S5_PS3_.num_named_barrier, 0
	.set _ZN9rocsparseL44gtsv_nopivot_strided_batch_pcr_shared_kernelILj512E21rocsparse_complex_numIfEEEviiiPKT0_S5_S5_PS3_.private_seg_size, 0
	.set _ZN9rocsparseL44gtsv_nopivot_strided_batch_pcr_shared_kernelILj512E21rocsparse_complex_numIfEEEviiiPKT0_S5_S5_PS3_.uses_vcc, 1
	.set _ZN9rocsparseL44gtsv_nopivot_strided_batch_pcr_shared_kernelILj512E21rocsparse_complex_numIfEEEviiiPKT0_S5_S5_PS3_.uses_flat_scratch, 0
	.set _ZN9rocsparseL44gtsv_nopivot_strided_batch_pcr_shared_kernelILj512E21rocsparse_complex_numIfEEEviiiPKT0_S5_S5_PS3_.has_dyn_sized_stack, 0
	.set _ZN9rocsparseL44gtsv_nopivot_strided_batch_pcr_shared_kernelILj512E21rocsparse_complex_numIfEEEviiiPKT0_S5_S5_PS3_.has_recursion, 0
	.set _ZN9rocsparseL44gtsv_nopivot_strided_batch_pcr_shared_kernelILj512E21rocsparse_complex_numIfEEEviiiPKT0_S5_S5_PS3_.has_indirect_call, 0
	.section	.AMDGPU.csdata,"",@progbits
; Kernel info:
; codeLenInByte = 5908
; TotalNumSgprs: 16
; NumVgprs: 32
; NumAgprs: 0
; TotalNumVgprs: 32
; ScratchSize: 0
; MemoryBound: 0
; FloatMode: 240
; IeeeMode: 1
; LDSByteSize: 20480 bytes/workgroup (compile time only)
; SGPRBlocks: 1
; VGPRBlocks: 3
; NumSGPRsForWavesPerEU: 16
; NumVGPRsForWavesPerEU: 32
; AccumOffset: 32
; Occupancy: 8
; WaveLimiterHint : 0
; COMPUTE_PGM_RSRC2:SCRATCH_EN: 0
; COMPUTE_PGM_RSRC2:USER_SGPR: 2
; COMPUTE_PGM_RSRC2:TRAP_HANDLER: 0
; COMPUTE_PGM_RSRC2:TGID_X_EN: 1
; COMPUTE_PGM_RSRC2:TGID_Y_EN: 0
; COMPUTE_PGM_RSRC2:TGID_Z_EN: 0
; COMPUTE_PGM_RSRC2:TIDIG_COMP_CNT: 0
; COMPUTE_PGM_RSRC3_GFX90A:ACCUM_OFFSET: 7
; COMPUTE_PGM_RSRC3_GFX90A:TG_SPLIT: 0
	.section	.text._ZN9rocsparseL49gtsv_nopivot_strided_batch_pcr_pow2_stage1_kernelILj256E21rocsparse_complex_numIfEEEviiiiPKT0_S5_S5_S5_PS3_S6_S6_S6_,"axG",@progbits,_ZN9rocsparseL49gtsv_nopivot_strided_batch_pcr_pow2_stage1_kernelILj256E21rocsparse_complex_numIfEEEviiiiPKT0_S5_S5_S5_PS3_S6_S6_S6_,comdat
	.globl	_ZN9rocsparseL49gtsv_nopivot_strided_batch_pcr_pow2_stage1_kernelILj256E21rocsparse_complex_numIfEEEviiiiPKT0_S5_S5_S5_PS3_S6_S6_S6_ ; -- Begin function _ZN9rocsparseL49gtsv_nopivot_strided_batch_pcr_pow2_stage1_kernelILj256E21rocsparse_complex_numIfEEEviiiiPKT0_S5_S5_S5_PS3_S6_S6_S6_
	.p2align	8
	.type	_ZN9rocsparseL49gtsv_nopivot_strided_batch_pcr_pow2_stage1_kernelILj256E21rocsparse_complex_numIfEEEviiiiPKT0_S5_S5_S5_PS3_S6_S6_S6_,@function
_ZN9rocsparseL49gtsv_nopivot_strided_batch_pcr_pow2_stage1_kernelILj256E21rocsparse_complex_numIfEEEviiiiPKT0_S5_S5_S5_PS3_S6_S6_S6_: ; @_ZN9rocsparseL49gtsv_nopivot_strided_batch_pcr_pow2_stage1_kernelILj256E21rocsparse_complex_numIfEEEviiiiPKT0_S5_S5_S5_PS3_S6_S6_S6_
; %bb.0:
	s_load_dwordx2 s[24:25], s[0:1], 0x0
	s_load_dwordx8 s[12:19], s[0:1], 0x30
	s_load_dword s22, s[0:1], 0xc
	s_load_dwordx8 s[4:11], s[0:1], 0x10
	v_lshl_or_b32 v0, s2, 8, v0
	s_waitcnt lgkmcnt(0)
	v_add_u32_e32 v1, s24, v0
	s_add_i32 s0, s25, -1
	v_min_i32_e32 v2, s0, v1
	s_mul_i32 s0, s25, s3
	s_ashr_i32 s1, s0, 31
	s_lshl_b64 s[20:21], s[0:1], 3
	s_add_u32 s0, s18, s20
	s_mul_i32 s2, s22, s3
	s_addc_u32 s1, s19, s21
	s_ashr_i32 s3, s2, 31
	s_lshl_b64 s[22:23], s[2:3], 3
	s_add_u32 s18, s10, s22
	s_addc_u32 s19, s11, s23
	s_add_u32 s2, s16, s20
	s_addc_u32 s3, s17, s21
	;; [unrolled: 2-line block ×4, first 2 shown]
	v_subrev_u32_e32 v1, s24, v0
	s_add_u32 s14, s6, s22
	v_max_i32_e32 v4, 0, v1
	v_mov_b32_e32 v5, 0
	s_addc_u32 s15, s7, s23
	v_lshlrev_b64 v[4:5], 3, v[4:5]
	v_ashrrev_i32_e32 v3, 31, v2
	v_ashrrev_i32_e32 v1, 31, v0
	v_lshl_add_u64 v[6:7], s[14:15], 0, v[4:5]
	v_lshlrev_b64 v[2:3], 3, v[2:3]
	v_lshlrev_b64 v[0:1], 3, v[0:1]
	global_load_dwordx2 v[6:7], v[6:7], off
	v_lshl_add_u64 v[10:11], s[18:19], 0, v[4:5]
	v_lshl_add_u64 v[12:13], s[10:11], 0, v[4:5]
	;; [unrolled: 1-line block ×4, first 2 shown]
	global_load_dwordx2 v[10:11], v[10:11], off
	s_add_u32 s6, s12, s20
	global_load_dwordx2 v[12:13], v[12:13], off
	s_nop 0
	global_load_dwordx2 v[16:17], v[14:15], off
	global_load_dwordx2 v[18:19], v[8:9], off
	s_addc_u32 s7, s13, s21
	s_add_u32 s4, s4, s22
	s_addc_u32 s5, s5, s23
	v_lshl_add_u64 v[8:9], s[4:5], 0, v[0:1]
	global_load_dwordx2 v[8:9], v[8:9], off
	v_lshl_add_u64 v[14:15], s[4:5], 0, v[2:3]
	global_load_dwordx2 v[14:15], v[14:15], off
	;; [unrolled: 2-line block ×3, first 2 shown]
	v_lshl_add_u64 v[24:25], s[18:19], 0, v[0:1]
	v_lshl_add_u64 v[22:23], s[18:19], 0, v[2:3]
	global_load_dwordx2 v[26:27], v[24:25], off
	global_load_dwordx2 v[28:29], v[22:23], off
	v_lshl_add_u64 v[4:5], s[4:5], 0, v[4:5]
	global_load_dwordx2 v[4:5], v[4:5], off
	v_lshl_add_u64 v[2:3], s[10:11], 0, v[2:3]
	;; [unrolled: 2-line block ×3, first 2 shown]
	v_lshl_add_u64 v[24:25], s[8:9], 0, v[0:1]
	s_waitcnt vmcnt(11)
	v_mul_f32_e32 v31, v7, v7
	v_fmac_f32_e32 v31, v6, v6
	s_waitcnt vmcnt(10)
	v_xor_b32_e32 v30, 0x80000000, v11
	s_waitcnt vmcnt(8)
	v_mul_f32_e32 v34, v17, v17
	s_waitcnt vmcnt(7)
	v_mul_f32_e32 v35, v17, v19
	v_mul_f32_e64 v36, v17, -v18
	v_fmac_f32_e32 v34, v16, v16
	v_fmac_f32_e32 v35, v18, v16
	v_div_scale_f32 v18, s[0:1], v31, v31, 1.0
	v_div_scale_f32 v37, s[0:1], v34, v34, 1.0
	v_rcp_f32_e32 v39, v18
	v_rcp_f32_e32 v40, v37
	s_waitcnt vmcnt(6)
	v_mul_f32_e32 v41, v7, v9
	v_mul_f32_e64 v7, v7, -v8
	v_fmac_f32_e32 v41, v8, v6
	v_fmac_f32_e32 v7, v9, v6
	v_fma_f32 v6, -v18, v39, 1.0
	v_fmac_f32_e32 v36, v19, v16
	v_div_scale_f32 v19, vcc, 1.0, v31, 1.0
	v_fma_f32 v8, -v37, v40, 1.0
	v_fmac_f32_e32 v39, v6, v39
	v_div_scale_f32 v38, s[0:1], 1.0, v34, 1.0
	v_fmac_f32_e32 v40, v8, v40
	v_mul_f32_e32 v6, v19, v39
	v_mul_f32_e32 v8, v38, v40
	v_fma_f32 v9, -v18, v6, v19
	v_fma_f32 v42, -v37, v8, v38
	v_fmac_f32_e32 v6, v9, v39
	v_fmac_f32_e32 v8, v42, v40
	v_fma_f32 v9, -v18, v6, v19
	v_fma_f32 v18, -v37, v8, v38
	v_div_fmas_f32 v6, v9, v39, v6
	s_mov_b64 vcc, s[0:1]
	v_div_fixup_f32 v9, v6, v31, 1.0
	v_div_fmas_f32 v18, v18, v40, v8
	v_xor_b32_e32 v32, 0x80000000, v13
	v_mov_b32_e32 v33, v12
	v_mul_f32_e32 v8, v7, v9
	v_div_fixup_f32 v7, v18, v34, 1.0
	s_waitcnt vmcnt(5)
	v_xor_b32_e32 v16, 0x80000000, v15
	v_mov_b32_e32 v17, v14
	v_mul_f32_e32 v6, v9, v41
	v_mul_f32_e32 v34, v36, v7
	v_pk_mul_f32 v[32:33], v[8:9], v[32:33] op_sel_hi:[0,1]
	v_mul_f32_e32 v18, v7, v35
	v_pk_fma_f32 v[12:13], v[12:13], v[6:7], v[32:33] op_sel_hi:[1,0,1]
	v_pk_mul_f32 v[16:17], v[34:35], v[16:17] op_sel_hi:[0,1]
	s_waitcnt vmcnt(4)
	v_pk_add_f32 v[12:13], v[20:21], v[12:13] neg_lo:[0,1] neg_hi:[0,1]
	v_pk_fma_f32 v[14:15], v[14:15], v[18:19], v[16:17] op_sel_hi:[1,0,1]
	v_mov_b32_e32 v31, v10
	v_pk_add_f32 v[12:13], v[12:13], v[14:15] neg_lo:[0,1] neg_hi:[0,1]
	global_store_dwordx2 v[24:25], v[12:13], off
	v_pk_mul_f32 v[12:13], v[8:9], v[30:31] op_sel_hi:[0,1]
	v_pk_fma_f32 v[10:11], v[10:11], v[6:7], v[12:13] op_sel_hi:[1,0,1]
	s_waitcnt vmcnt(3)
	v_xor_b32_e32 v12, 0x80000000, v29
	v_mov_b32_e32 v13, v28
	v_pk_mul_f32 v[12:13], v[34:35], v[12:13] op_sel_hi:[0,1]
	v_pk_add_f32 v[10:11], v[26:27], v[10:11] neg_lo:[0,1] neg_hi:[0,1]
	v_pk_fma_f32 v[12:13], v[28:29], v[18:19], v[12:13] op_sel_hi:[1,0,1]
	s_nop 0
	v_pk_add_f32 v[10:11], v[10:11], v[12:13] neg_lo:[0,1] neg_hi:[0,1]
	s_waitcnt vmcnt(2)
	v_pk_add_f32 v[12:13], v[4:5], 0 neg_lo:[1,1] neg_hi:[1,1]
	global_store_dwordx2 v[22:23], v[10:11], off
	v_pk_mov_b32 v[12:13], v[4:5], v[12:13] op_sel:[1,0]
	v_lshl_add_u64 v[10:11], s[6:7], 0, v[0:1]
	v_pk_mul_f32 v[8:9], v[8:9], v[12:13] op_sel_hi:[0,1]
	v_pk_fma_f32 v[4:5], v[4:5], v[6:7], v[8:9] op_sel_hi:[1,0,1] neg_lo:[1,0,0] neg_hi:[1,0,0]
	global_store_dwordx2 v[10:11], v[4:5], off
	s_waitcnt vmcnt(3)
	v_pk_add_f32 v[4:5], v[2:3], 0 neg_lo:[1,1] neg_hi:[1,1]
	v_lshl_add_u64 v[0:1], s[2:3], 0, v[0:1]
	v_pk_mov_b32 v[4:5], v[2:3], v[4:5] op_sel:[1,0]
	s_nop 0
	v_pk_mul_f32 v[4:5], v[34:35], v[4:5] op_sel_hi:[0,1]
	v_pk_fma_f32 v[2:3], v[2:3], v[18:19], v[4:5] op_sel_hi:[1,0,1] neg_lo:[1,0,0] neg_hi:[1,0,0]
	global_store_dwordx2 v[0:1], v[2:3], off
	s_endpgm
	.section	.rodata,"a",@progbits
	.p2align	6, 0x0
	.amdhsa_kernel _ZN9rocsparseL49gtsv_nopivot_strided_batch_pcr_pow2_stage1_kernelILj256E21rocsparse_complex_numIfEEEviiiiPKT0_S5_S5_S5_PS3_S6_S6_S6_
		.amdhsa_group_segment_fixed_size 0
		.amdhsa_private_segment_fixed_size 0
		.amdhsa_kernarg_size 80
		.amdhsa_user_sgpr_count 2
		.amdhsa_user_sgpr_dispatch_ptr 0
		.amdhsa_user_sgpr_queue_ptr 0
		.amdhsa_user_sgpr_kernarg_segment_ptr 1
		.amdhsa_user_sgpr_dispatch_id 0
		.amdhsa_user_sgpr_kernarg_preload_length 0
		.amdhsa_user_sgpr_kernarg_preload_offset 0
		.amdhsa_user_sgpr_private_segment_size 0
		.amdhsa_uses_dynamic_stack 0
		.amdhsa_enable_private_segment 0
		.amdhsa_system_sgpr_workgroup_id_x 1
		.amdhsa_system_sgpr_workgroup_id_y 1
		.amdhsa_system_sgpr_workgroup_id_z 0
		.amdhsa_system_sgpr_workgroup_info 0
		.amdhsa_system_vgpr_workitem_id 0
		.amdhsa_next_free_vgpr 43
		.amdhsa_next_free_sgpr 26
		.amdhsa_accum_offset 44
		.amdhsa_reserve_vcc 1
		.amdhsa_float_round_mode_32 0
		.amdhsa_float_round_mode_16_64 0
		.amdhsa_float_denorm_mode_32 3
		.amdhsa_float_denorm_mode_16_64 3
		.amdhsa_dx10_clamp 1
		.amdhsa_ieee_mode 1
		.amdhsa_fp16_overflow 0
		.amdhsa_tg_split 0
		.amdhsa_exception_fp_ieee_invalid_op 0
		.amdhsa_exception_fp_denorm_src 0
		.amdhsa_exception_fp_ieee_div_zero 0
		.amdhsa_exception_fp_ieee_overflow 0
		.amdhsa_exception_fp_ieee_underflow 0
		.amdhsa_exception_fp_ieee_inexact 0
		.amdhsa_exception_int_div_zero 0
	.end_amdhsa_kernel
	.section	.text._ZN9rocsparseL49gtsv_nopivot_strided_batch_pcr_pow2_stage1_kernelILj256E21rocsparse_complex_numIfEEEviiiiPKT0_S5_S5_S5_PS3_S6_S6_S6_,"axG",@progbits,_ZN9rocsparseL49gtsv_nopivot_strided_batch_pcr_pow2_stage1_kernelILj256E21rocsparse_complex_numIfEEEviiiiPKT0_S5_S5_S5_PS3_S6_S6_S6_,comdat
.Lfunc_end59:
	.size	_ZN9rocsparseL49gtsv_nopivot_strided_batch_pcr_pow2_stage1_kernelILj256E21rocsparse_complex_numIfEEEviiiiPKT0_S5_S5_S5_PS3_S6_S6_S6_, .Lfunc_end59-_ZN9rocsparseL49gtsv_nopivot_strided_batch_pcr_pow2_stage1_kernelILj256E21rocsparse_complex_numIfEEEviiiiPKT0_S5_S5_S5_PS3_S6_S6_S6_
                                        ; -- End function
	.set _ZN9rocsparseL49gtsv_nopivot_strided_batch_pcr_pow2_stage1_kernelILj256E21rocsparse_complex_numIfEEEviiiiPKT0_S5_S5_S5_PS3_S6_S6_S6_.num_vgpr, 43
	.set _ZN9rocsparseL49gtsv_nopivot_strided_batch_pcr_pow2_stage1_kernelILj256E21rocsparse_complex_numIfEEEviiiiPKT0_S5_S5_S5_PS3_S6_S6_S6_.num_agpr, 0
	.set _ZN9rocsparseL49gtsv_nopivot_strided_batch_pcr_pow2_stage1_kernelILj256E21rocsparse_complex_numIfEEEviiiiPKT0_S5_S5_S5_PS3_S6_S6_S6_.numbered_sgpr, 26
	.set _ZN9rocsparseL49gtsv_nopivot_strided_batch_pcr_pow2_stage1_kernelILj256E21rocsparse_complex_numIfEEEviiiiPKT0_S5_S5_S5_PS3_S6_S6_S6_.num_named_barrier, 0
	.set _ZN9rocsparseL49gtsv_nopivot_strided_batch_pcr_pow2_stage1_kernelILj256E21rocsparse_complex_numIfEEEviiiiPKT0_S5_S5_S5_PS3_S6_S6_S6_.private_seg_size, 0
	.set _ZN9rocsparseL49gtsv_nopivot_strided_batch_pcr_pow2_stage1_kernelILj256E21rocsparse_complex_numIfEEEviiiiPKT0_S5_S5_S5_PS3_S6_S6_S6_.uses_vcc, 1
	.set _ZN9rocsparseL49gtsv_nopivot_strided_batch_pcr_pow2_stage1_kernelILj256E21rocsparse_complex_numIfEEEviiiiPKT0_S5_S5_S5_PS3_S6_S6_S6_.uses_flat_scratch, 0
	.set _ZN9rocsparseL49gtsv_nopivot_strided_batch_pcr_pow2_stage1_kernelILj256E21rocsparse_complex_numIfEEEviiiiPKT0_S5_S5_S5_PS3_S6_S6_S6_.has_dyn_sized_stack, 0
	.set _ZN9rocsparseL49gtsv_nopivot_strided_batch_pcr_pow2_stage1_kernelILj256E21rocsparse_complex_numIfEEEviiiiPKT0_S5_S5_S5_PS3_S6_S6_S6_.has_recursion, 0
	.set _ZN9rocsparseL49gtsv_nopivot_strided_batch_pcr_pow2_stage1_kernelILj256E21rocsparse_complex_numIfEEEviiiiPKT0_S5_S5_S5_PS3_S6_S6_S6_.has_indirect_call, 0
	.section	.AMDGPU.csdata,"",@progbits
; Kernel info:
; codeLenInByte = 928
; TotalNumSgprs: 32
; NumVgprs: 43
; NumAgprs: 0
; TotalNumVgprs: 43
; ScratchSize: 0
; MemoryBound: 0
; FloatMode: 240
; IeeeMode: 1
; LDSByteSize: 0 bytes/workgroup (compile time only)
; SGPRBlocks: 3
; VGPRBlocks: 5
; NumSGPRsForWavesPerEU: 32
; NumVGPRsForWavesPerEU: 43
; AccumOffset: 44
; Occupancy: 8
; WaveLimiterHint : 0
; COMPUTE_PGM_RSRC2:SCRATCH_EN: 0
; COMPUTE_PGM_RSRC2:USER_SGPR: 2
; COMPUTE_PGM_RSRC2:TRAP_HANDLER: 0
; COMPUTE_PGM_RSRC2:TGID_X_EN: 1
; COMPUTE_PGM_RSRC2:TGID_Y_EN: 1
; COMPUTE_PGM_RSRC2:TGID_Z_EN: 0
; COMPUTE_PGM_RSRC2:TIDIG_COMP_CNT: 0
; COMPUTE_PGM_RSRC3_GFX90A:ACCUM_OFFSET: 10
; COMPUTE_PGM_RSRC3_GFX90A:TG_SPLIT: 0
	.section	.text._ZN9rocsparseL48gtsv_nopivot_strided_batch_cr_pow2_stage2_kernelILj256E21rocsparse_complex_numIfEEEviiiPKT0_S5_S5_S5_PS3_,"axG",@progbits,_ZN9rocsparseL48gtsv_nopivot_strided_batch_cr_pow2_stage2_kernelILj256E21rocsparse_complex_numIfEEEviiiPKT0_S5_S5_S5_PS3_,comdat
	.globl	_ZN9rocsparseL48gtsv_nopivot_strided_batch_cr_pow2_stage2_kernelILj256E21rocsparse_complex_numIfEEEviiiPKT0_S5_S5_S5_PS3_ ; -- Begin function _ZN9rocsparseL48gtsv_nopivot_strided_batch_cr_pow2_stage2_kernelILj256E21rocsparse_complex_numIfEEEviiiPKT0_S5_S5_S5_PS3_
	.p2align	8
	.type	_ZN9rocsparseL48gtsv_nopivot_strided_batch_cr_pow2_stage2_kernelILj256E21rocsparse_complex_numIfEEEviiiPKT0_S5_S5_S5_PS3_,@function
_ZN9rocsparseL48gtsv_nopivot_strided_batch_cr_pow2_stage2_kernelILj256E21rocsparse_complex_numIfEEEviiiPKT0_S5_S5_S5_PS3_: ; @_ZN9rocsparseL48gtsv_nopivot_strided_batch_cr_pow2_stage2_kernelILj256E21rocsparse_complex_numIfEEEviiiPKT0_S5_S5_S5_PS3_
; %bb.0:
	s_load_dword s12, s[0:1], 0x38
	s_load_dword s13, s[0:1], 0x0
	s_load_dwordx8 s[4:11], s[0:1], 0x10
	v_mov_b32_e32 v3, 0
	s_waitcnt lgkmcnt(0)
	v_mul_lo_u32 v1, s12, v0
	v_add_u32_e32 v4, s2, v1
	s_mul_i32 s13, s13, s3
	v_add_u32_e32 v2, s13, v4
	v_lshl_add_u32 v5, s12, 8, v4
	v_lshlrev_b64 v[6:7], 3, v[2:3]
	v_add_u32_e32 v2, s13, v5
	v_lshlrev_b64 v[2:3], 3, v[2:3]
	v_lshl_add_u64 v[8:9], s[4:5], 0, v[6:7]
	v_lshl_add_u64 v[14:15], s[4:5], 0, v[2:3]
	global_load_dwordx2 v[8:9], v[8:9], off
	v_lshl_add_u64 v[10:11], s[6:7], 0, v[6:7]
	global_load_dwordx2 v[14:15], v[14:15], off
	;; [unrolled: 2-line block ×7, first 2 shown]
	s_mov_b32 s4, 0
	global_load_dwordx2 v[20:21], v[2:3], off
	s_movk_i32 s2, 0x100
	s_mov_b32 s5, s4
	v_lshlrev_b32_e32 v1, 3, v0
	v_add_u32_e32 v2, 1, v0
	v_mov_b64_e32 v[22:23], s[4:5]
	v_cmp_gt_u32_e64 s[20:21], s2, v0
	ds_write2st64_b64 v1, v[22:23], v[22:23] offset0:24 offset1:28
	s_waitcnt vmcnt(6)
	ds_write2st64_b64 v1, v[8:9], v[14:15] offset1:4
	s_waitcnt vmcnt(4)
	ds_write2st64_b64 v1, v[10:11], v[16:17] offset0:8 offset1:12
	s_waitcnt vmcnt(2)
	ds_write2st64_b64 v1, v[12:13], v[18:19] offset0:16 offset1:20
	;; [unrolled: 2-line block ×3, first 2 shown]
	s_waitcnt lgkmcnt(0)
	s_barrier
	s_and_saveexec_b64 s[4:5], s[20:21]
	s_cbranch_execz .LBB60_2
; %bb.1:
	v_lshlrev_b32_e32 v3, 4, v2
	ds_read_b128 v[6:9], v3 offset:4080
	v_lshlrev_b32_e32 v10, 1, v2
	v_min_u32_e32 v14, 0x1ff, v10
	ds_read_b128 v[10:13], v3 offset:16368
	v_add_u32_e32 v25, -8, v3
	s_waitcnt lgkmcnt(1)
	v_mul_f32_e32 v15, v7, v7
	v_fmac_f32_e32 v15, v6, v6
	v_div_scale_f32 v16, s[6:7], v15, v15, 1.0
	v_rcp_f32_e32 v17, v16
	ds_read_b64 v[18:19], v25
	v_lshlrev_b32_e32 v27, 3, v14
	v_add_u32_e32 v20, -16, v3
	v_fma_f32 v21, -v16, v17, 1.0
	v_fmac_f32_e32 v17, v21, v17
	v_div_scale_f32 v21, vcc, 1.0, v15, 1.0
	v_mul_f32_e32 v22, v21, v17
	v_fma_f32 v23, -v16, v22, v21
	v_fmac_f32_e32 v22, v23, v17
	v_fma_f32 v16, -v16, v22, v21
	v_div_fmas_f32 v16, v16, v17, v22
	v_div_fixup_f32 v21, v16, v15, 1.0
	ds_read2st64_b64 v[14:17], v27 offset1:8
	ds_read_b64 v[22:23], v20
	s_waitcnt lgkmcnt(2)
	v_mul_f32_e32 v20, v7, v19
	v_mul_f32_e64 v7, v7, -v18
	v_fmac_f32_e32 v20, v18, v6
	v_fmac_f32_e32 v7, v19, v6
	s_waitcnt lgkmcnt(1)
	v_mul_f32_e32 v6, v17, v17
	v_fmac_f32_e32 v6, v16, v16
	v_div_scale_f32 v28, s[6:7], v6, v6, 1.0
	v_rcp_f32_e32 v29, v28
	v_mul_f32_e32 v26, v7, v21
	v_add_u32_e32 v7, 0x1800, v3
	v_mul_f32_e32 v24, v21, v20
	ds_read2_b64 v[18:21], v7 offset0:254 offset1:255
	v_fma_f32 v7, -v28, v29, 1.0
	v_fmac_f32_e32 v29, v7, v29
	v_div_scale_f32 v7, vcc, 1.0, v6, 1.0
	v_mul_f32_e32 v30, v7, v29
	v_fma_f32 v31, -v28, v30, v7
	v_fmac_f32_e32 v30, v31, v29
	v_fma_f32 v7, -v28, v30, v7
	v_div_fmas_f32 v7, v7, v29, v30
	v_div_fixup_f32 v6, v7, v6, 1.0
	s_waitcnt lgkmcnt(0)
	v_mul_f32_e32 v7, v17, v21
	v_fmac_f32_e32 v7, v20, v16
	v_mul_f32_e32 v28, v6, v7
	v_mul_f32_e64 v7, v17, -v20
	v_fmac_f32_e32 v7, v21, v16
	v_mul_f32_e32 v16, v7, v6
	v_xor_b32_e32 v6, 0x80000000, v19
	v_mov_b32_e32 v7, v18
	v_pk_mul_f32 v[6:7], v[26:27], v[6:7] op_sel_hi:[0,1]
	v_pk_fma_f32 v[6:7], v[18:19], v[24:25], v[6:7] op_sel_hi:[1,0,1]
	s_nop 0
	v_pk_add_f32 v[18:19], v[8:9], v[6:7] neg_lo:[0,1] neg_hi:[0,1]
	v_xor_b32_e32 v6, 0x80000000, v15
	v_mov_b32_e32 v7, v14
	v_pk_mul_f32 v[6:7], v[16:17], v[6:7] op_sel_hi:[0,1]
	v_pk_fma_f32 v[14:15], v[14:15], v[28:29], v[6:7] op_sel_hi:[1,0,1]
	ds_read2st64_b64 v[6:9], v27 offset0:16 offset1:32
	v_pk_add_f32 v[14:15], v[18:19], v[14:15] neg_lo:[0,1] neg_hi:[0,1]
	v_pk_mul_f32 v[18:19], v[26:27], v[10:11] op_sel:[0,1] op_sel_hi:[0,0] neg_lo:[0,1]
	v_pk_fma_f32 v[10:11], v[10:11], v[24:25], v[18:19] op_sel_hi:[1,0,1]
	s_nop 0
	v_pk_add_f32 v[10:11], v[12:13], v[10:11] neg_lo:[0,1] neg_hi:[0,1]
	s_waitcnt lgkmcnt(0)
	v_xor_b32_e32 v12, 0x80000000, v9
	v_mov_b32_e32 v13, v8
	v_pk_mul_f32 v[12:13], v[16:17], v[12:13] op_sel_hi:[0,1]
	v_pk_fma_f32 v[8:9], v[8:9], v[28:29], v[12:13] op_sel_hi:[1,0,1]
	s_nop 0
	v_pk_add_f32 v[8:9], v[10:11], v[8:9] neg_lo:[0,1] neg_hi:[0,1]
	ds_write_b64 v3, v[8:9] offset:16376
	v_pk_add_f32 v[8:9], v[22:23], 0 neg_lo:[1,1] neg_hi:[1,1]
	v_add_u32_e32 v3, 0x1f8, v3
	v_pk_mov_b32 v[8:9], v[22:23], v[8:9] op_sel:[1,0]
	s_nop 0
	v_pk_mul_f32 v[8:9], v[26:27], v[8:9] op_sel_hi:[0,1]
	v_pk_fma_f32 v[8:9], v[22:23], v[24:25], v[8:9] op_sel_hi:[1,0,1] neg_lo:[1,0,0] neg_hi:[1,0,0]
	ds_write_b64 v25, v[8:9]
	v_pk_add_f32 v[8:9], v[6:7], 0 neg_lo:[1,1] neg_hi:[1,1]
	s_nop 0
	v_pk_mov_b32 v[8:9], v[6:7], v[8:9] op_sel:[1,0]
	s_nop 0
	v_pk_mul_f32 v[8:9], v[16:17], v[8:9] op_sel_hi:[0,1]
	v_pk_fma_f32 v[6:7], v[6:7], v[28:29], v[8:9] op_sel_hi:[1,0,1] neg_lo:[1,0,0] neg_hi:[1,0,0]
	ds_write2st64_b64 v3, v[14:15], v[6:7] offset0:7 offset1:15
.LBB60_2:
	s_or_b64 exec, exec, s[4:5]
	s_movk_i32 s2, 0x80
	v_cmp_gt_u32_e64 s[4:5], s2, v0
	s_waitcnt lgkmcnt(0)
	s_barrier
	s_and_saveexec_b64 s[6:7], s[4:5]
	s_cbranch_execz .LBB60_4
; %bb.3:
	v_lshlrev_b32_e32 v3, 5, v2
	v_add_u32_e32 v6, 0x800, v3
	ds_read2_b64 v[6:9], v6 offset0:253 offset1:255
	v_lshl_or_b32 v10, v2, 2, 1
	v_min_u32_e32 v10, 0x1ff, v10
	v_add_u32_e32 v21, -8, v3
	ds_read_b64 v[14:15], v21
	s_waitcnt lgkmcnt(1)
	v_mul_f32_e32 v11, v7, v7
	v_fmac_f32_e32 v11, v6, v6
	v_div_scale_f32 v12, s[8:9], v11, v11, 1.0
	v_rcp_f32_e32 v13, v12
	v_lshlrev_b32_e32 v23, 3, v10
	v_subrev_u32_e32 v16, 24, v3
	v_fma_f32 v17, -v12, v13, 1.0
	v_fmac_f32_e32 v13, v17, v13
	v_div_scale_f32 v17, vcc, 1.0, v11, 1.0
	v_mul_f32_e32 v18, v17, v13
	v_fma_f32 v19, -v12, v18, v17
	v_fmac_f32_e32 v18, v19, v13
	v_fma_f32 v12, -v12, v18, v17
	v_div_fmas_f32 v12, v12, v13, v18
	v_div_fixup_f32 v17, v12, v11, 1.0
	ds_read2st64_b64 v[10:13], v23 offset1:8
	ds_read_b64 v[18:19], v16
	s_waitcnt lgkmcnt(2)
	v_mul_f32_e32 v16, v7, v15
	v_mul_f32_e64 v7, v7, -v14
	v_fmac_f32_e32 v16, v14, v6
	v_fmac_f32_e32 v7, v15, v6
	s_waitcnt lgkmcnt(1)
	v_mul_f32_e32 v6, v13, v13
	v_fmac_f32_e32 v6, v12, v12
	v_div_scale_f32 v24, s[8:9], v6, v6, 1.0
	v_rcp_f32_e32 v25, v24
	v_mul_f32_e32 v22, v7, v17
	v_add_u32_e32 v7, 0x1800, v3
	v_mul_f32_e32 v20, v17, v16
	ds_read2_b64 v[14:17], v7 offset0:253 offset1:255
	v_fma_f32 v7, -v24, v25, 1.0
	v_fmac_f32_e32 v25, v7, v25
	v_div_scale_f32 v7, vcc, 1.0, v6, 1.0
	v_mul_f32_e32 v26, v7, v25
	v_fma_f32 v27, -v24, v26, v7
	v_fmac_f32_e32 v26, v27, v25
	v_fma_f32 v7, -v24, v26, v7
	v_div_fmas_f32 v7, v7, v25, v26
	v_div_fixup_f32 v6, v7, v6, 1.0
	s_waitcnt lgkmcnt(0)
	v_mul_f32_e32 v7, v13, v17
	v_fmac_f32_e32 v7, v16, v12
	v_mul_f32_e32 v24, v6, v7
	v_mul_f32_e64 v7, v13, -v16
	v_fmac_f32_e32 v7, v17, v12
	v_mul_f32_e32 v16, v7, v6
	v_xor_b32_e32 v6, 0x80000000, v15
	v_mov_b32_e32 v7, v14
	v_pk_mul_f32 v[6:7], v[22:23], v[6:7] op_sel_hi:[0,1]
	v_pk_fma_f32 v[6:7], v[14:15], v[20:21], v[6:7] op_sel_hi:[1,0,1]
	v_xor_b32_e32 v14, 0x80000000, v11
	v_pk_add_f32 v[12:13], v[8:9], v[6:7] neg_lo:[0,1] neg_hi:[0,1]
	v_add_u32_e32 v6, 0x3800, v3
	v_mov_b32_e32 v15, v10
	ds_read2_b64 v[6:9], v6 offset0:253 offset1:255
	v_pk_mul_f32 v[14:15], v[16:17], v[14:15] op_sel_hi:[0,1]
	v_pk_fma_f32 v[10:11], v[10:11], v[24:25], v[14:15] op_sel_hi:[1,0,1]
	s_waitcnt lgkmcnt(0)
	v_xor_b32_e32 v26, 0x80000000, v7
	v_pk_add_f32 v[14:15], v[12:13], v[10:11] neg_lo:[0,1] neg_hi:[0,1]
	ds_read2st64_b64 v[10:13], v23 offset0:16 offset1:32
	v_mov_b32_e32 v27, v6
	v_pk_mul_f32 v[26:27], v[22:23], v[26:27] op_sel_hi:[0,1]
	v_pk_fma_f32 v[6:7], v[6:7], v[20:21], v[26:27] op_sel_hi:[1,0,1]
	s_nop 0
	v_pk_add_f32 v[6:7], v[8:9], v[6:7] neg_lo:[0,1] neg_hi:[0,1]
	s_waitcnt lgkmcnt(0)
	v_xor_b32_e32 v8, 0x80000000, v13
	v_mov_b32_e32 v9, v12
	v_pk_mul_f32 v[8:9], v[16:17], v[8:9] op_sel_hi:[0,1]
	v_pk_fma_f32 v[8:9], v[12:13], v[24:25], v[8:9] op_sel_hi:[1,0,1]
	s_nop 0
	v_pk_add_f32 v[6:7], v[6:7], v[8:9] neg_lo:[0,1] neg_hi:[0,1]
	ds_write_b64 v3, v[6:7] offset:16376
	v_pk_add_f32 v[6:7], v[18:19], 0 neg_lo:[1,1] neg_hi:[1,1]
	v_add_u32_e32 v3, 0x1f8, v3
	v_pk_mov_b32 v[6:7], v[18:19], v[6:7] op_sel:[1,0]
	s_nop 0
	v_pk_mul_f32 v[6:7], v[22:23], v[6:7] op_sel_hi:[0,1]
	v_pk_fma_f32 v[6:7], v[18:19], v[20:21], v[6:7] op_sel_hi:[1,0,1] neg_lo:[1,0,0] neg_hi:[1,0,0]
	ds_write_b64 v21, v[6:7]
	v_pk_add_f32 v[6:7], v[10:11], 0 neg_lo:[1,1] neg_hi:[1,1]
	s_nop 0
	v_pk_mov_b32 v[6:7], v[10:11], v[6:7] op_sel:[1,0]
	s_nop 0
	v_pk_mul_f32 v[6:7], v[16:17], v[6:7] op_sel_hi:[0,1]
	v_pk_fma_f32 v[6:7], v[10:11], v[24:25], v[6:7] op_sel_hi:[1,0,1] neg_lo:[1,0,0] neg_hi:[1,0,0]
	ds_write2st64_b64 v3, v[14:15], v[6:7] offset0:7 offset1:15
.LBB60_4:
	s_or_b64 exec, exec, s[6:7]
	v_cmp_gt_u32_e64 s[6:7], 64, v0
	s_waitcnt lgkmcnt(0)
	s_barrier
	s_and_saveexec_b64 s[8:9], s[6:7]
	s_cbranch_execz .LBB60_6
; %bb.5:
	v_lshlrev_b32_e32 v3, 6, v2
	v_add_u32_e32 v6, 0x800, v3
	ds_read2_b64 v[6:9], v6 offset0:251 offset1:255
	v_lshl_or_b32 v10, v2, 3, 3
	v_min_u32_e32 v10, 0x1ff, v10
	v_add_u32_e32 v21, -8, v3
	ds_read_b64 v[14:15], v21
	s_waitcnt lgkmcnt(1)
	v_mul_f32_e32 v11, v7, v7
	v_fmac_f32_e32 v11, v6, v6
	v_div_scale_f32 v12, s[10:11], v11, v11, 1.0
	v_rcp_f32_e32 v13, v12
	v_lshlrev_b32_e32 v23, 3, v10
	v_subrev_u32_e32 v16, 40, v3
	v_fma_f32 v17, -v12, v13, 1.0
	v_fmac_f32_e32 v13, v17, v13
	v_div_scale_f32 v17, vcc, 1.0, v11, 1.0
	v_mul_f32_e32 v18, v17, v13
	v_fma_f32 v19, -v12, v18, v17
	v_fmac_f32_e32 v18, v19, v13
	v_fma_f32 v12, -v12, v18, v17
	v_div_fmas_f32 v12, v12, v13, v18
	v_div_fixup_f32 v17, v12, v11, 1.0
	ds_read2st64_b64 v[10:13], v23 offset1:8
	ds_read_b64 v[18:19], v16
	s_waitcnt lgkmcnt(2)
	v_mul_f32_e32 v16, v7, v15
	v_mul_f32_e64 v7, v7, -v14
	v_fmac_f32_e32 v16, v14, v6
	v_fmac_f32_e32 v7, v15, v6
	s_waitcnt lgkmcnt(1)
	v_mul_f32_e32 v6, v13, v13
	v_fmac_f32_e32 v6, v12, v12
	v_div_scale_f32 v24, s[10:11], v6, v6, 1.0
	v_rcp_f32_e32 v25, v24
	v_mul_f32_e32 v22, v7, v17
	v_add_u32_e32 v7, 0x1800, v3
	v_mul_f32_e32 v20, v17, v16
	ds_read2_b64 v[14:17], v7 offset0:251 offset1:255
	v_fma_f32 v7, -v24, v25, 1.0
	v_fmac_f32_e32 v25, v7, v25
	v_div_scale_f32 v7, vcc, 1.0, v6, 1.0
	v_mul_f32_e32 v26, v7, v25
	v_fma_f32 v27, -v24, v26, v7
	v_fmac_f32_e32 v26, v27, v25
	v_fma_f32 v7, -v24, v26, v7
	v_div_fmas_f32 v7, v7, v25, v26
	v_div_fixup_f32 v6, v7, v6, 1.0
	s_waitcnt lgkmcnt(0)
	v_mul_f32_e32 v7, v13, v17
	v_fmac_f32_e32 v7, v16, v12
	v_mul_f32_e32 v24, v6, v7
	v_mul_f32_e64 v7, v13, -v16
	v_fmac_f32_e32 v7, v17, v12
	v_mul_f32_e32 v16, v7, v6
	v_xor_b32_e32 v6, 0x80000000, v15
	v_mov_b32_e32 v7, v14
	v_pk_mul_f32 v[6:7], v[22:23], v[6:7] op_sel_hi:[0,1]
	v_pk_fma_f32 v[6:7], v[14:15], v[20:21], v[6:7] op_sel_hi:[1,0,1]
	v_xor_b32_e32 v14, 0x80000000, v11
	v_pk_add_f32 v[12:13], v[8:9], v[6:7] neg_lo:[0,1] neg_hi:[0,1]
	v_add_u32_e32 v6, 0x3800, v3
	v_mov_b32_e32 v15, v10
	ds_read2_b64 v[6:9], v6 offset0:251 offset1:255
	v_pk_mul_f32 v[14:15], v[16:17], v[14:15] op_sel_hi:[0,1]
	v_pk_fma_f32 v[10:11], v[10:11], v[24:25], v[14:15] op_sel_hi:[1,0,1]
	s_waitcnt lgkmcnt(0)
	v_xor_b32_e32 v26, 0x80000000, v7
	v_pk_add_f32 v[14:15], v[12:13], v[10:11] neg_lo:[0,1] neg_hi:[0,1]
	ds_read2st64_b64 v[10:13], v23 offset0:16 offset1:32
	v_mov_b32_e32 v27, v6
	v_pk_mul_f32 v[26:27], v[22:23], v[26:27] op_sel_hi:[0,1]
	v_pk_fma_f32 v[6:7], v[6:7], v[20:21], v[26:27] op_sel_hi:[1,0,1]
	s_nop 0
	v_pk_add_f32 v[6:7], v[8:9], v[6:7] neg_lo:[0,1] neg_hi:[0,1]
	s_waitcnt lgkmcnt(0)
	v_xor_b32_e32 v8, 0x80000000, v13
	v_mov_b32_e32 v9, v12
	v_pk_mul_f32 v[8:9], v[16:17], v[8:9] op_sel_hi:[0,1]
	v_pk_fma_f32 v[8:9], v[12:13], v[24:25], v[8:9] op_sel_hi:[1,0,1]
	s_nop 0
	v_pk_add_f32 v[6:7], v[6:7], v[8:9] neg_lo:[0,1] neg_hi:[0,1]
	ds_write_b64 v3, v[6:7] offset:16376
	v_pk_add_f32 v[6:7], v[18:19], 0 neg_lo:[1,1] neg_hi:[1,1]
	v_add_u32_e32 v3, 0x1f8, v3
	v_pk_mov_b32 v[6:7], v[18:19], v[6:7] op_sel:[1,0]
	s_nop 0
	v_pk_mul_f32 v[6:7], v[22:23], v[6:7] op_sel_hi:[0,1]
	v_pk_fma_f32 v[6:7], v[18:19], v[20:21], v[6:7] op_sel_hi:[1,0,1] neg_lo:[1,0,0] neg_hi:[1,0,0]
	ds_write_b64 v21, v[6:7]
	v_pk_add_f32 v[6:7], v[10:11], 0 neg_lo:[1,1] neg_hi:[1,1]
	s_nop 0
	v_pk_mov_b32 v[6:7], v[10:11], v[6:7] op_sel:[1,0]
	s_nop 0
	v_pk_mul_f32 v[6:7], v[16:17], v[6:7] op_sel_hi:[0,1]
	v_pk_fma_f32 v[6:7], v[10:11], v[24:25], v[6:7] op_sel_hi:[1,0,1] neg_lo:[1,0,0] neg_hi:[1,0,0]
	ds_write2st64_b64 v3, v[14:15], v[6:7] offset0:7 offset1:15
.LBB60_6:
	s_or_b64 exec, exec, s[8:9]
	v_cmp_gt_u32_e64 s[8:9], 32, v0
	s_waitcnt lgkmcnt(0)
	s_barrier
	s_and_saveexec_b64 s[10:11], s[8:9]
	s_cbranch_execz .LBB60_8
; %bb.7:
	v_lshlrev_b32_e32 v3, 7, v2
	v_add_u32_e32 v6, 0x800, v3
	ds_read2_b64 v[6:9], v6 offset0:247 offset1:255
	v_lshl_or_b32 v10, v2, 4, 7
	v_min_u32_e32 v10, 0x1ff, v10
	v_add_u32_e32 v21, -8, v3
	ds_read_b64 v[14:15], v21
	s_waitcnt lgkmcnt(1)
	v_mul_f32_e32 v11, v7, v7
	v_fmac_f32_e32 v11, v6, v6
	v_div_scale_f32 v12, s[12:13], v11, v11, 1.0
	v_rcp_f32_e32 v13, v12
	v_lshlrev_b32_e32 v23, 3, v10
	v_add_u32_e32 v16, 0xffffffb8, v3
	v_fma_f32 v17, -v12, v13, 1.0
	v_fmac_f32_e32 v13, v17, v13
	v_div_scale_f32 v17, vcc, 1.0, v11, 1.0
	v_mul_f32_e32 v18, v17, v13
	v_fma_f32 v19, -v12, v18, v17
	v_fmac_f32_e32 v18, v19, v13
	v_fma_f32 v12, -v12, v18, v17
	v_div_fmas_f32 v12, v12, v13, v18
	v_div_fixup_f32 v17, v12, v11, 1.0
	ds_read2st64_b64 v[10:13], v23 offset1:8
	ds_read_b64 v[18:19], v16
	s_waitcnt lgkmcnt(2)
	v_mul_f32_e32 v16, v7, v15
	v_mul_f32_e64 v7, v7, -v14
	v_fmac_f32_e32 v16, v14, v6
	v_fmac_f32_e32 v7, v15, v6
	s_waitcnt lgkmcnt(1)
	v_mul_f32_e32 v6, v13, v13
	v_fmac_f32_e32 v6, v12, v12
	v_div_scale_f32 v24, s[12:13], v6, v6, 1.0
	v_rcp_f32_e32 v25, v24
	v_mul_f32_e32 v22, v7, v17
	v_add_u32_e32 v7, 0x1800, v3
	v_mul_f32_e32 v20, v17, v16
	ds_read2_b64 v[14:17], v7 offset0:247 offset1:255
	v_fma_f32 v7, -v24, v25, 1.0
	v_fmac_f32_e32 v25, v7, v25
	v_div_scale_f32 v7, vcc, 1.0, v6, 1.0
	v_mul_f32_e32 v26, v7, v25
	v_fma_f32 v27, -v24, v26, v7
	v_fmac_f32_e32 v26, v27, v25
	v_fma_f32 v7, -v24, v26, v7
	v_div_fmas_f32 v7, v7, v25, v26
	v_div_fixup_f32 v6, v7, v6, 1.0
	s_waitcnt lgkmcnt(0)
	v_mul_f32_e32 v7, v13, v17
	v_fmac_f32_e32 v7, v16, v12
	v_mul_f32_e32 v24, v6, v7
	v_mul_f32_e64 v7, v13, -v16
	v_fmac_f32_e32 v7, v17, v12
	v_mul_f32_e32 v16, v7, v6
	v_xor_b32_e32 v6, 0x80000000, v15
	v_mov_b32_e32 v7, v14
	v_pk_mul_f32 v[6:7], v[22:23], v[6:7] op_sel_hi:[0,1]
	v_pk_fma_f32 v[6:7], v[14:15], v[20:21], v[6:7] op_sel_hi:[1,0,1]
	v_xor_b32_e32 v14, 0x80000000, v11
	v_pk_add_f32 v[12:13], v[8:9], v[6:7] neg_lo:[0,1] neg_hi:[0,1]
	v_add_u32_e32 v6, 0x3800, v3
	v_mov_b32_e32 v15, v10
	ds_read2_b64 v[6:9], v6 offset0:247 offset1:255
	v_pk_mul_f32 v[14:15], v[16:17], v[14:15] op_sel_hi:[0,1]
	v_pk_fma_f32 v[10:11], v[10:11], v[24:25], v[14:15] op_sel_hi:[1,0,1]
	s_waitcnt lgkmcnt(0)
	v_xor_b32_e32 v26, 0x80000000, v7
	v_pk_add_f32 v[14:15], v[12:13], v[10:11] neg_lo:[0,1] neg_hi:[0,1]
	ds_read2st64_b64 v[10:13], v23 offset0:16 offset1:32
	v_mov_b32_e32 v27, v6
	v_pk_mul_f32 v[26:27], v[22:23], v[26:27] op_sel_hi:[0,1]
	v_pk_fma_f32 v[6:7], v[6:7], v[20:21], v[26:27] op_sel_hi:[1,0,1]
	s_nop 0
	v_pk_add_f32 v[6:7], v[8:9], v[6:7] neg_lo:[0,1] neg_hi:[0,1]
	s_waitcnt lgkmcnt(0)
	v_xor_b32_e32 v8, 0x80000000, v13
	v_mov_b32_e32 v9, v12
	v_pk_mul_f32 v[8:9], v[16:17], v[8:9] op_sel_hi:[0,1]
	v_pk_fma_f32 v[8:9], v[12:13], v[24:25], v[8:9] op_sel_hi:[1,0,1]
	s_nop 0
	v_pk_add_f32 v[6:7], v[6:7], v[8:9] neg_lo:[0,1] neg_hi:[0,1]
	ds_write_b64 v3, v[6:7] offset:16376
	v_pk_add_f32 v[6:7], v[18:19], 0 neg_lo:[1,1] neg_hi:[1,1]
	v_add_u32_e32 v3, 0x1f8, v3
	v_pk_mov_b32 v[6:7], v[18:19], v[6:7] op_sel:[1,0]
	s_nop 0
	v_pk_mul_f32 v[6:7], v[22:23], v[6:7] op_sel_hi:[0,1]
	v_pk_fma_f32 v[6:7], v[18:19], v[20:21], v[6:7] op_sel_hi:[1,0,1] neg_lo:[1,0,0] neg_hi:[1,0,0]
	ds_write_b64 v21, v[6:7]
	v_pk_add_f32 v[6:7], v[10:11], 0 neg_lo:[1,1] neg_hi:[1,1]
	s_nop 0
	v_pk_mov_b32 v[6:7], v[10:11], v[6:7] op_sel:[1,0]
	s_nop 0
	v_pk_mul_f32 v[6:7], v[16:17], v[6:7] op_sel_hi:[0,1]
	v_pk_fma_f32 v[6:7], v[10:11], v[24:25], v[6:7] op_sel_hi:[1,0,1] neg_lo:[1,0,0] neg_hi:[1,0,0]
	ds_write2st64_b64 v3, v[14:15], v[6:7] offset0:7 offset1:15
.LBB60_8:
	s_or_b64 exec, exec, s[10:11]
	v_cmp_gt_u32_e64 s[10:11], 16, v0
	s_waitcnt lgkmcnt(0)
	s_barrier
	s_and_saveexec_b64 s[12:13], s[10:11]
	s_cbranch_execz .LBB60_10
; %bb.9:
	v_lshlrev_b32_e32 v3, 8, v2
	v_add_u32_e32 v6, 0x800, v3
	ds_read2_b64 v[6:9], v6 offset0:239 offset1:255
	v_lshl_or_b32 v10, v2, 5, 15
	v_min_u32_e32 v10, 0x1ff, v10
	v_add_u32_e32 v21, -8, v3
	ds_read_b64 v[14:15], v21
	s_waitcnt lgkmcnt(1)
	v_mul_f32_e32 v11, v7, v7
	v_fmac_f32_e32 v11, v6, v6
	v_div_scale_f32 v12, s[14:15], v11, v11, 1.0
	v_rcp_f32_e32 v13, v12
	v_lshlrev_b32_e32 v23, 3, v10
	v_add_u32_e32 v16, 0xffffff78, v3
	v_fma_f32 v17, -v12, v13, 1.0
	v_fmac_f32_e32 v13, v17, v13
	v_div_scale_f32 v17, vcc, 1.0, v11, 1.0
	v_mul_f32_e32 v18, v17, v13
	v_fma_f32 v19, -v12, v18, v17
	v_fmac_f32_e32 v18, v19, v13
	v_fma_f32 v12, -v12, v18, v17
	v_div_fmas_f32 v12, v12, v13, v18
	v_div_fixup_f32 v17, v12, v11, 1.0
	ds_read2st64_b64 v[10:13], v23 offset1:8
	ds_read_b64 v[18:19], v16
	s_waitcnt lgkmcnt(2)
	v_mul_f32_e32 v16, v7, v15
	v_mul_f32_e64 v7, v7, -v14
	v_fmac_f32_e32 v16, v14, v6
	v_fmac_f32_e32 v7, v15, v6
	s_waitcnt lgkmcnt(1)
	v_mul_f32_e32 v6, v13, v13
	v_fmac_f32_e32 v6, v12, v12
	v_div_scale_f32 v24, s[14:15], v6, v6, 1.0
	v_rcp_f32_e32 v25, v24
	v_mul_f32_e32 v22, v7, v17
	v_add_u32_e32 v7, 0x1800, v3
	v_mul_f32_e32 v20, v17, v16
	ds_read2_b64 v[14:17], v7 offset0:239 offset1:255
	v_fma_f32 v7, -v24, v25, 1.0
	v_fmac_f32_e32 v25, v7, v25
	v_div_scale_f32 v7, vcc, 1.0, v6, 1.0
	v_mul_f32_e32 v26, v7, v25
	v_fma_f32 v27, -v24, v26, v7
	v_fmac_f32_e32 v26, v27, v25
	v_fma_f32 v7, -v24, v26, v7
	v_div_fmas_f32 v7, v7, v25, v26
	v_div_fixup_f32 v6, v7, v6, 1.0
	s_waitcnt lgkmcnt(0)
	v_mul_f32_e32 v7, v13, v17
	v_fmac_f32_e32 v7, v16, v12
	v_mul_f32_e32 v24, v6, v7
	v_mul_f32_e64 v7, v13, -v16
	v_fmac_f32_e32 v7, v17, v12
	v_mul_f32_e32 v16, v7, v6
	v_xor_b32_e32 v6, 0x80000000, v15
	v_mov_b32_e32 v7, v14
	v_pk_mul_f32 v[6:7], v[22:23], v[6:7] op_sel_hi:[0,1]
	v_pk_fma_f32 v[6:7], v[14:15], v[20:21], v[6:7] op_sel_hi:[1,0,1]
	v_xor_b32_e32 v14, 0x80000000, v11
	v_pk_add_f32 v[12:13], v[8:9], v[6:7] neg_lo:[0,1] neg_hi:[0,1]
	v_add_u32_e32 v6, 0x3800, v3
	v_mov_b32_e32 v15, v10
	ds_read2_b64 v[6:9], v6 offset0:239 offset1:255
	v_pk_mul_f32 v[14:15], v[16:17], v[14:15] op_sel_hi:[0,1]
	v_pk_fma_f32 v[10:11], v[10:11], v[24:25], v[14:15] op_sel_hi:[1,0,1]
	s_waitcnt lgkmcnt(0)
	v_xor_b32_e32 v26, 0x80000000, v7
	v_pk_add_f32 v[14:15], v[12:13], v[10:11] neg_lo:[0,1] neg_hi:[0,1]
	ds_read2st64_b64 v[10:13], v23 offset0:16 offset1:32
	v_mov_b32_e32 v27, v6
	v_pk_mul_f32 v[26:27], v[22:23], v[26:27] op_sel_hi:[0,1]
	v_pk_fma_f32 v[6:7], v[6:7], v[20:21], v[26:27] op_sel_hi:[1,0,1]
	s_nop 0
	v_pk_add_f32 v[6:7], v[8:9], v[6:7] neg_lo:[0,1] neg_hi:[0,1]
	s_waitcnt lgkmcnt(0)
	v_xor_b32_e32 v8, 0x80000000, v13
	v_mov_b32_e32 v9, v12
	v_pk_mul_f32 v[8:9], v[16:17], v[8:9] op_sel_hi:[0,1]
	v_pk_fma_f32 v[8:9], v[12:13], v[24:25], v[8:9] op_sel_hi:[1,0,1]
	s_nop 0
	v_pk_add_f32 v[6:7], v[6:7], v[8:9] neg_lo:[0,1] neg_hi:[0,1]
	ds_write_b64 v3, v[6:7] offset:16376
	v_pk_add_f32 v[6:7], v[18:19], 0 neg_lo:[1,1] neg_hi:[1,1]
	v_add_u32_e32 v3, 0x1f8, v3
	v_pk_mov_b32 v[6:7], v[18:19], v[6:7] op_sel:[1,0]
	s_nop 0
	v_pk_mul_f32 v[6:7], v[22:23], v[6:7] op_sel_hi:[0,1]
	v_pk_fma_f32 v[6:7], v[18:19], v[20:21], v[6:7] op_sel_hi:[1,0,1] neg_lo:[1,0,0] neg_hi:[1,0,0]
	ds_write_b64 v21, v[6:7]
	v_pk_add_f32 v[6:7], v[10:11], 0 neg_lo:[1,1] neg_hi:[1,1]
	s_nop 0
	v_pk_mov_b32 v[6:7], v[10:11], v[6:7] op_sel:[1,0]
	s_nop 0
	v_pk_mul_f32 v[6:7], v[16:17], v[6:7] op_sel_hi:[0,1]
	v_pk_fma_f32 v[6:7], v[10:11], v[24:25], v[6:7] op_sel_hi:[1,0,1] neg_lo:[1,0,0] neg_hi:[1,0,0]
	ds_write2st64_b64 v3, v[14:15], v[6:7] offset0:7 offset1:15
.LBB60_10:
	s_or_b64 exec, exec, s[12:13]
	v_cmp_gt_u32_e64 s[14:15], 8, v0
	s_waitcnt lgkmcnt(0)
	s_barrier
	s_and_saveexec_b64 s[12:13], s[14:15]
	s_cbranch_execz .LBB60_12
; %bb.11:
	v_lshlrev_b32_e32 v3, 9, v2
	v_add_u32_e32 v6, 0x800, v3
	ds_read2_b64 v[6:9], v6 offset0:223 offset1:255
	v_lshl_or_b32 v10, v2, 6, 31
	v_min_u32_e32 v10, 0x1ff, v10
	v_add_u32_e32 v21, -8, v3
	ds_read_b64 v[14:15], v21
	s_waitcnt lgkmcnt(1)
	v_mul_f32_e32 v11, v7, v7
	v_fmac_f32_e32 v11, v6, v6
	v_div_scale_f32 v12, s[16:17], v11, v11, 1.0
	v_rcp_f32_e32 v13, v12
	v_lshlrev_b32_e32 v23, 3, v10
	v_add_u32_e32 v16, 0xfffffef8, v3
	v_fma_f32 v17, -v12, v13, 1.0
	v_fmac_f32_e32 v13, v17, v13
	v_div_scale_f32 v17, vcc, 1.0, v11, 1.0
	v_mul_f32_e32 v18, v17, v13
	v_fma_f32 v19, -v12, v18, v17
	v_fmac_f32_e32 v18, v19, v13
	v_fma_f32 v12, -v12, v18, v17
	v_div_fmas_f32 v12, v12, v13, v18
	v_div_fixup_f32 v17, v12, v11, 1.0
	ds_read2st64_b64 v[10:13], v23 offset1:8
	ds_read_b64 v[18:19], v16
	s_waitcnt lgkmcnt(2)
	v_mul_f32_e32 v16, v7, v15
	v_mul_f32_e64 v7, v7, -v14
	v_fmac_f32_e32 v16, v14, v6
	v_fmac_f32_e32 v7, v15, v6
	s_waitcnt lgkmcnt(1)
	v_mul_f32_e32 v6, v13, v13
	v_fmac_f32_e32 v6, v12, v12
	v_div_scale_f32 v24, s[16:17], v6, v6, 1.0
	v_rcp_f32_e32 v25, v24
	v_mul_f32_e32 v22, v7, v17
	v_add_u32_e32 v7, 0x1800, v3
	v_mul_f32_e32 v20, v17, v16
	ds_read2_b64 v[14:17], v7 offset0:223 offset1:255
	v_fma_f32 v7, -v24, v25, 1.0
	v_fmac_f32_e32 v25, v7, v25
	v_div_scale_f32 v7, vcc, 1.0, v6, 1.0
	v_mul_f32_e32 v26, v7, v25
	v_fma_f32 v27, -v24, v26, v7
	v_fmac_f32_e32 v26, v27, v25
	v_fma_f32 v7, -v24, v26, v7
	v_div_fmas_f32 v7, v7, v25, v26
	v_div_fixup_f32 v6, v7, v6, 1.0
	s_waitcnt lgkmcnt(0)
	v_mul_f32_e32 v7, v13, v17
	v_fmac_f32_e32 v7, v16, v12
	v_mul_f32_e32 v24, v6, v7
	v_mul_f32_e64 v7, v13, -v16
	v_fmac_f32_e32 v7, v17, v12
	v_mul_f32_e32 v16, v7, v6
	v_xor_b32_e32 v6, 0x80000000, v15
	v_mov_b32_e32 v7, v14
	v_pk_mul_f32 v[6:7], v[22:23], v[6:7] op_sel_hi:[0,1]
	v_pk_fma_f32 v[6:7], v[14:15], v[20:21], v[6:7] op_sel_hi:[1,0,1]
	v_xor_b32_e32 v14, 0x80000000, v11
	v_pk_add_f32 v[12:13], v[8:9], v[6:7] neg_lo:[0,1] neg_hi:[0,1]
	v_add_u32_e32 v6, 0x3800, v3
	v_mov_b32_e32 v15, v10
	ds_read2_b64 v[6:9], v6 offset0:223 offset1:255
	v_pk_mul_f32 v[14:15], v[16:17], v[14:15] op_sel_hi:[0,1]
	v_pk_fma_f32 v[10:11], v[10:11], v[24:25], v[14:15] op_sel_hi:[1,0,1]
	s_waitcnt lgkmcnt(0)
	v_xor_b32_e32 v26, 0x80000000, v7
	v_pk_add_f32 v[14:15], v[12:13], v[10:11] neg_lo:[0,1] neg_hi:[0,1]
	ds_read2st64_b64 v[10:13], v23 offset0:16 offset1:32
	v_mov_b32_e32 v27, v6
	v_pk_mul_f32 v[26:27], v[22:23], v[26:27] op_sel_hi:[0,1]
	v_pk_fma_f32 v[6:7], v[6:7], v[20:21], v[26:27] op_sel_hi:[1,0,1]
	s_nop 0
	v_pk_add_f32 v[6:7], v[8:9], v[6:7] neg_lo:[0,1] neg_hi:[0,1]
	s_waitcnt lgkmcnt(0)
	v_xor_b32_e32 v8, 0x80000000, v13
	v_mov_b32_e32 v9, v12
	v_pk_mul_f32 v[8:9], v[16:17], v[8:9] op_sel_hi:[0,1]
	v_pk_fma_f32 v[8:9], v[12:13], v[24:25], v[8:9] op_sel_hi:[1,0,1]
	s_nop 0
	v_pk_add_f32 v[6:7], v[6:7], v[8:9] neg_lo:[0,1] neg_hi:[0,1]
	ds_write_b64 v3, v[6:7] offset:16376
	v_pk_add_f32 v[6:7], v[18:19], 0 neg_lo:[1,1] neg_hi:[1,1]
	v_add_u32_e32 v3, 0x1f8, v3
	v_pk_mov_b32 v[6:7], v[18:19], v[6:7] op_sel:[1,0]
	s_nop 0
	v_pk_mul_f32 v[6:7], v[22:23], v[6:7] op_sel_hi:[0,1]
	v_pk_fma_f32 v[6:7], v[18:19], v[20:21], v[6:7] op_sel_hi:[1,0,1] neg_lo:[1,0,0] neg_hi:[1,0,0]
	ds_write_b64 v21, v[6:7]
	v_pk_add_f32 v[6:7], v[10:11], 0 neg_lo:[1,1] neg_hi:[1,1]
	s_nop 0
	v_pk_mov_b32 v[6:7], v[10:11], v[6:7] op_sel:[1,0]
	s_nop 0
	v_pk_mul_f32 v[6:7], v[16:17], v[6:7] op_sel_hi:[0,1]
	v_pk_fma_f32 v[6:7], v[10:11], v[24:25], v[6:7] op_sel_hi:[1,0,1] neg_lo:[1,0,0] neg_hi:[1,0,0]
	ds_write2st64_b64 v3, v[14:15], v[6:7] offset0:7 offset1:15
.LBB60_12:
	s_or_b64 exec, exec, s[12:13]
	v_cmp_gt_u32_e64 s[16:17], 4, v0
	s_waitcnt lgkmcnt(0)
	s_barrier
	s_and_saveexec_b64 s[12:13], s[16:17]
	s_cbranch_execz .LBB60_14
; %bb.13:
	v_lshlrev_b32_e32 v3, 10, v2
	v_add_u32_e32 v23, 0x1f8, v3
	ds_read2st64_b64 v[6:9], v23 offset0:6 offset1:7
	v_lshl_or_b32 v10, v2, 7, 63
	v_min_u32_e32 v14, 0x1ff, v10
	ds_read2st64_b64 v[10:13], v23 offset0:14 offset1:15
	v_add_u32_e32 v25, -8, v3
	s_waitcnt lgkmcnt(1)
	v_mul_f32_e32 v15, v7, v7
	v_fmac_f32_e32 v15, v6, v6
	v_div_scale_f32 v16, s[18:19], v15, v15, 1.0
	v_rcp_f32_e32 v17, v16
	v_add_u32_e32 v20, 0xfffffdf8, v3
	v_lshlrev_b32_e32 v26, 3, v14
	ds_read_b64 v[18:19], v25
	v_fma_f32 v21, -v16, v17, 1.0
	v_fmac_f32_e32 v17, v21, v17
	v_div_scale_f32 v21, vcc, 1.0, v15, 1.0
	v_mul_f32_e32 v22, v21, v17
	v_fma_f32 v24, -v16, v22, v21
	v_fmac_f32_e32 v22, v24, v17
	v_fma_f32 v16, -v16, v22, v21
	v_div_fmas_f32 v16, v16, v17, v22
	v_div_fixup_f32 v24, v16, v15, 1.0
	ds_read2st64_b64 v[14:17], v26 offset1:8
	ds_read_b64 v[20:21], v20
	s_waitcnt lgkmcnt(2)
	v_mul_f32_e32 v22, v7, v19
	v_mul_f32_e64 v7, v7, -v18
	v_fmac_f32_e32 v22, v18, v6
	s_waitcnt lgkmcnt(1)
	v_mul_f32_e32 v27, v17, v17
	v_fmac_f32_e32 v27, v16, v16
	v_div_scale_f32 v28, s[18:19], v27, v27, 1.0
	v_rcp_f32_e32 v29, v28
	v_fmac_f32_e32 v7, v19, v6
	v_mul_f32_e32 v18, v7, v24
	v_mul_f32_e32 v22, v24, v22
	v_fma_f32 v6, -v28, v29, 1.0
	v_fmac_f32_e32 v29, v6, v29
	v_div_scale_f32 v6, vcc, 1.0, v27, 1.0
	v_mul_f32_e32 v7, v6, v29
	v_fma_f32 v19, -v28, v7, v6
	v_fmac_f32_e32 v7, v19, v29
	v_fma_f32 v6, -v28, v7, v6
	v_div_fmas_f32 v6, v6, v29, v7
	v_mul_f32_e32 v7, v17, v13
	v_div_fixup_f32 v6, v6, v27, 1.0
	v_fmac_f32_e32 v7, v12, v16
	v_mul_f32_e32 v24, v6, v7
	v_mul_f32_e64 v7, v17, -v12
	v_fmac_f32_e32 v7, v13, v16
	v_mul_f32_e32 v16, v7, v6
	v_xor_b32_e32 v6, 0x80000000, v11
	v_mov_b32_e32 v7, v10
	v_pk_mul_f32 v[6:7], v[18:19], v[6:7] op_sel_hi:[0,1]
	v_pk_fma_f32 v[6:7], v[10:11], v[22:23], v[6:7] op_sel_hi:[1,0,1]
	v_xor_b32_e32 v12, 0x80000000, v15
	v_pk_add_f32 v[10:11], v[8:9], v[6:7] neg_lo:[0,1] neg_hi:[0,1]
	v_mov_b32_e32 v13, v14
	ds_read2st64_b64 v[6:9], v23 offset0:30 offset1:31
	v_pk_mul_f32 v[12:13], v[16:17], v[12:13] op_sel_hi:[0,1]
	v_pk_fma_f32 v[12:13], v[14:15], v[24:25], v[12:13] op_sel_hi:[1,0,1]
	s_waitcnt lgkmcnt(0)
	v_mov_b32_e32 v27, v6
	v_pk_add_f32 v[14:15], v[10:11], v[12:13] neg_lo:[0,1] neg_hi:[0,1]
	ds_read2st64_b64 v[10:13], v26 offset0:16 offset1:32
	v_xor_b32_e32 v26, 0x80000000, v7
	v_pk_mul_f32 v[26:27], v[18:19], v[26:27] op_sel_hi:[0,1]
	v_pk_fma_f32 v[6:7], v[6:7], v[22:23], v[26:27] op_sel_hi:[1,0,1]
	s_nop 0
	v_pk_add_f32 v[6:7], v[8:9], v[6:7] neg_lo:[0,1] neg_hi:[0,1]
	s_waitcnt lgkmcnt(0)
	v_xor_b32_e32 v8, 0x80000000, v13
	v_mov_b32_e32 v9, v12
	v_pk_mul_f32 v[8:9], v[16:17], v[8:9] op_sel_hi:[0,1]
	v_pk_fma_f32 v[8:9], v[12:13], v[24:25], v[8:9] op_sel_hi:[1,0,1]
	s_nop 0
	v_pk_add_f32 v[6:7], v[6:7], v[8:9] neg_lo:[0,1] neg_hi:[0,1]
	ds_write_b64 v3, v[6:7] offset:16376
	v_pk_add_f32 v[6:7], v[20:21], 0 neg_lo:[1,1] neg_hi:[1,1]
	s_nop 0
	v_pk_mov_b32 v[6:7], v[20:21], v[6:7] op_sel:[1,0]
	s_nop 0
	v_pk_mul_f32 v[6:7], v[18:19], v[6:7] op_sel_hi:[0,1]
	v_pk_fma_f32 v[6:7], v[20:21], v[22:23], v[6:7] op_sel_hi:[1,0,1] neg_lo:[1,0,0] neg_hi:[1,0,0]
	ds_write_b64 v25, v[6:7]
	v_pk_add_f32 v[6:7], v[10:11], 0 neg_lo:[1,1] neg_hi:[1,1]
	s_nop 0
	v_pk_mov_b32 v[6:7], v[10:11], v[6:7] op_sel:[1,0]
	s_nop 0
	v_pk_mul_f32 v[6:7], v[16:17], v[6:7] op_sel_hi:[0,1]
	v_pk_fma_f32 v[6:7], v[10:11], v[24:25], v[6:7] op_sel_hi:[1,0,1] neg_lo:[1,0,0] neg_hi:[1,0,0]
	ds_write2st64_b64 v23, v[14:15], v[6:7] offset0:7 offset1:15
.LBB60_14:
	s_or_b64 exec, exec, s[12:13]
	v_cmp_gt_u32_e64 s[18:19], 2, v0
	s_waitcnt lgkmcnt(0)
	s_barrier
	s_and_saveexec_b64 s[12:13], s[18:19]
	s_cbranch_execz .LBB60_16
; %bb.15:
	v_lshlrev_b32_e32 v21, 11, v2
	v_add_u32_e32 v23, 0x1f8, v21
	ds_read2st64_b64 v[6:9], v23 offset0:5 offset1:7
	v_mov_b32_e32 v3, 0x7f
	v_lshl_or_b32 v2, v2, 8, v3
	v_add_u32_e32 v26, -8, v21
	v_min_u32_e32 v13, 0x1ff, v2
	s_waitcnt lgkmcnt(0)
	v_mul_f32_e32 v10, v7, v7
	v_fmac_f32_e32 v10, v6, v6
	v_div_scale_f32 v11, s[22:23], v10, v10, 1.0
	v_rcp_f32_e32 v12, v11
	ds_read_b64 v[2:3], v26
	v_lshlrev_b32_e32 v24, 3, v13
	v_add_u32_e32 v14, 0xfffffbf8, v21
	v_fma_f32 v15, -v11, v12, 1.0
	v_fmac_f32_e32 v12, v15, v12
	v_div_scale_f32 v15, vcc, 1.0, v10, 1.0
	v_mul_f32_e32 v16, v15, v12
	v_fma_f32 v17, -v11, v16, v15
	v_fmac_f32_e32 v16, v17, v12
	v_fma_f32 v11, -v11, v16, v15
	v_div_fmas_f32 v11, v11, v12, v16
	v_div_fixup_f32 v15, v11, v10, 1.0
	ds_read2st64_b64 v[10:13], v24 offset1:8
	ds_read_b64 v[18:19], v14
	s_waitcnt lgkmcnt(2)
	v_mul_f32_e32 v14, v7, v3
	v_fmac_f32_e32 v14, v2, v6
	v_mul_f32_e64 v2, v7, -v2
	s_waitcnt lgkmcnt(1)
	v_mul_f32_e32 v7, v13, v13
	v_fmac_f32_e32 v7, v12, v12
	v_div_scale_f32 v22, s[22:23], v7, v7, 1.0
	v_rcp_f32_e32 v25, v22
	v_fmac_f32_e32 v2, v3, v6
	v_mul_f32_e32 v20, v15, v14
	v_mul_f32_e32 v2, v2, v15
	v_fma_f32 v3, -v22, v25, 1.0
	ds_read2st64_b64 v[14:17], v23 offset0:13 offset1:15
	v_fmac_f32_e32 v25, v3, v25
	v_div_scale_f32 v3, vcc, 1.0, v7, 1.0
	v_mul_f32_e32 v6, v3, v25
	v_fma_f32 v27, -v22, v6, v3
	v_fmac_f32_e32 v6, v27, v25
	v_fma_f32 v3, -v22, v6, v3
	v_div_fmas_f32 v3, v3, v25, v6
	s_waitcnt lgkmcnt(0)
	v_mul_f32_e32 v6, v13, v17
	v_div_fixup_f32 v3, v3, v7, 1.0
	v_fmac_f32_e32 v6, v16, v12
	v_mul_f32_e32 v22, v3, v6
	v_mul_f32_e64 v6, v13, -v16
	v_fmac_f32_e32 v6, v17, v12
	v_mul_f32_e32 v16, v6, v3
	v_xor_b32_e32 v6, 0x80000000, v15
	v_mov_b32_e32 v7, v14
	v_pk_mul_f32 v[6:7], v[2:3], v[6:7] op_sel_hi:[0,1]
	v_pk_fma_f32 v[6:7], v[14:15], v[20:21], v[6:7] op_sel_hi:[1,0,1]
	v_xor_b32_e32 v14, 0x80000000, v11
	v_pk_add_f32 v[12:13], v[8:9], v[6:7] neg_lo:[0,1] neg_hi:[0,1]
	v_mov_b32_e32 v15, v10
	ds_read2st64_b64 v[6:9], v23 offset0:29 offset1:31
	v_pk_mul_f32 v[14:15], v[16:17], v[14:15] op_sel_hi:[0,1]
	v_pk_fma_f32 v[10:11], v[10:11], v[22:23], v[14:15] op_sel_hi:[1,0,1]
	s_waitcnt lgkmcnt(0)
	v_mov_b32_e32 v25, v6
	v_pk_add_f32 v[14:15], v[12:13], v[10:11] neg_lo:[0,1] neg_hi:[0,1]
	ds_read2st64_b64 v[10:13], v24 offset0:16 offset1:32
	v_xor_b32_e32 v24, 0x80000000, v7
	v_pk_mul_f32 v[24:25], v[2:3], v[24:25] op_sel_hi:[0,1]
	v_pk_fma_f32 v[6:7], v[6:7], v[20:21], v[24:25] op_sel_hi:[1,0,1]
	s_nop 0
	v_pk_add_f32 v[6:7], v[8:9], v[6:7] neg_lo:[0,1] neg_hi:[0,1]
	s_waitcnt lgkmcnt(0)
	v_xor_b32_e32 v8, 0x80000000, v13
	v_mov_b32_e32 v9, v12
	v_pk_mul_f32 v[8:9], v[16:17], v[8:9] op_sel_hi:[0,1]
	v_pk_fma_f32 v[8:9], v[12:13], v[22:23], v[8:9] op_sel_hi:[1,0,1]
	s_nop 0
	v_pk_add_f32 v[6:7], v[6:7], v[8:9] neg_lo:[0,1] neg_hi:[0,1]
	ds_write_b64 v21, v[6:7] offset:16376
	v_pk_add_f32 v[6:7], v[18:19], 0 neg_lo:[1,1] neg_hi:[1,1]
	s_nop 0
	v_pk_mov_b32 v[6:7], v[18:19], v[6:7] op_sel:[1,0]
	s_nop 0
	v_pk_mul_f32 v[2:3], v[2:3], v[6:7] op_sel_hi:[0,1]
	v_pk_fma_f32 v[2:3], v[18:19], v[20:21], v[2:3] op_sel_hi:[1,0,1] neg_lo:[1,0,0] neg_hi:[1,0,0]
	ds_write_b64 v26, v[2:3]
	v_pk_add_f32 v[2:3], v[10:11], 0 neg_lo:[1,1] neg_hi:[1,1]
	s_nop 0
	v_pk_mov_b32 v[2:3], v[10:11], v[2:3] op_sel:[1,0]
	s_nop 0
	v_pk_mul_f32 v[2:3], v[16:17], v[2:3] op_sel_hi:[0,1]
	v_pk_fma_f32 v[2:3], v[10:11], v[22:23], v[2:3] op_sel_hi:[1,0,1] neg_lo:[1,0,0] neg_hi:[1,0,0]
	ds_write2st64_b64 v23, v[14:15], v[2:3] offset0:7 offset1:15
.LBB60_16:
	s_or_b64 exec, exec, s[12:13]
	v_cmp_ne_u32_e64 s[12:13], 0, v0
	v_cmp_eq_u32_e32 vcc, 0, v0
	s_waitcnt lgkmcnt(0)
	s_barrier
	s_and_saveexec_b64 s[22:23], vcc
	s_cbranch_execz .LBB60_18
; %bb.17:
	s_movk_i32 s2, 0x1f8
	v_add_u32_e64 v21, s2, 0
	ds_read2st64_b64 v[6:9], v21 offset0:15 offset1:19
	ds_read2st64_b64 v[10:13], v21 offset0:7 offset1:11
	v_mov_b32_e32 v23, 0
	s_waitcnt lgkmcnt(1)
	v_xor_b32_e32 v2, 0x80000000, v7
	v_xor_b32_e32 v14, 0x80000000, v9
	v_mov_b32_e32 v3, v6
	v_mov_b32_e32 v15, v8
	s_waitcnt lgkmcnt(0)
	v_pk_mul_f32 v[16:17], v[12:13], v[2:3] op_sel:[1,0]
	v_pk_mul_f32 v[18:19], v[10:11], v[14:15] op_sel:[1,0]
	v_pk_fma_f32 v[16:17], v[6:7], v[12:13], v[16:17] op_sel_hi:[1,0,1]
	v_pk_fma_f32 v[18:19], v[8:9], v[10:11], v[18:19] op_sel_hi:[1,0,1]
	s_nop 0
	v_pk_add_f32 v[16:17], v[16:17], v[18:19] neg_lo:[0,1] neg_hi:[0,1]
	ds_read_b32 v18, v23 offset:18424
	ds_read_b32 v20, v23 offset:18428
	;; [unrolled: 1-line block ×3, first 2 shown]
	v_mul_f32_e32 v19, v17, v17
	v_fmac_f32_e32 v19, v16, v16
	v_div_scale_f32 v24, s[24:25], v19, v19, 1.0
	v_rcp_f32_e32 v25, v24
	s_waitcnt lgkmcnt(1)
	v_pk_mul_f32 v[2:3], v[20:21], v[2:3] op_sel_hi:[0,1]
	s_waitcnt lgkmcnt(0)
	v_pk_mul_f32 v[14:15], v[22:23], v[14:15] op_sel_hi:[0,1]
	v_fma_f32 v26, -v24, v25, 1.0
	v_fmac_f32_e32 v25, v26, v25
	v_div_scale_f32 v26, vcc, 1.0, v19, 1.0
	v_mul_f32_e32 v27, v26, v25
	v_fma_f32 v28, -v24, v27, v26
	v_fmac_f32_e32 v27, v28, v25
	v_fma_f32 v24, -v24, v27, v26
	ds_read_b32 v26, v23 offset:20472
	ds_read_b64 v[28:29], v23 offset:18424
	v_div_fmas_f32 v24, v24, v25, v27
	v_div_fixup_f32 v19, v24, v19, 1.0
	v_pk_fma_f32 v[2:3], v[6:7], v[18:19], v[2:3] op_sel_hi:[1,0,1]
	ds_read_b64 v[6:7], v23 offset:20472
	s_waitcnt lgkmcnt(2)
	v_pk_fma_f32 v[8:9], v[8:9], v[26:27], v[14:15] op_sel_hi:[1,0,1]
	v_fma_f32 v24, 0, v17, v16
	v_fma_f32 v16, v16, 0, -v17
	v_pk_add_f32 v[2:3], v[2:3], v[8:9] neg_lo:[0,1] neg_hi:[0,1]
	v_mul_f32_e32 v16, v16, v19
	v_xor_b32_e32 v8, 0x80000000, v3
	v_mov_b32_e32 v9, v2
	v_mul_f32_e32 v24, v24, v19
	v_pk_mul_f32 v[8:9], v[16:17], v[8:9] op_sel_hi:[0,1]
	v_pk_fma_f32 v[2:3], v[2:3], v[24:25], v[8:9] op_sel_hi:[1,0,1]
	s_waitcnt lgkmcnt(0)
	v_xor_b32_e32 v8, 0x80000000, v7
	v_mov_b32_e32 v9, v6
	v_pk_mul_f32 v[8:9], v[12:13], v[8:9] op_sel:[1,0]
	s_nop 0
	v_pk_fma_f32 v[6:7], v[6:7], v[12:13], v[8:9] op_sel_hi:[1,0,1]
	v_xor_b32_e32 v8, 0x80000000, v29
	v_mov_b32_e32 v9, v28
	v_pk_mul_f32 v[8:9], v[10:11], v[8:9] op_sel:[1,0]
	s_nop 0
	v_pk_fma_f32 v[8:9], v[28:29], v[10:11], v[8:9] op_sel_hi:[1,0,1]
	s_nop 0
	v_pk_add_f32 v[6:7], v[6:7], v[8:9] neg_lo:[0,1] neg_hi:[0,1]
	s_nop 0
	v_xor_b32_e32 v8, 0x80000000, v7
	v_mov_b32_e32 v9, v6
	v_pk_mul_f32 v[8:9], v[16:17], v[8:9] op_sel_hi:[0,1]
	v_pk_fma_f32 v[6:7], v[6:7], v[24:25], v[8:9] op_sel_hi:[1,0,1]
	ds_write2st64_b64 v21, v[2:3], v[6:7] offset0:27 offset1:31
.LBB60_18:
	s_or_b64 exec, exec, s[22:23]
	s_load_dwordx2 s[22:23], s[0:1], 0x30
	s_waitcnt lgkmcnt(0)
	s_barrier
	s_and_saveexec_b64 s[24:25], s[18:19]
	s_cbranch_execz .LBB60_24
; %bb.19:
	v_lshlrev_b32_e32 v2, 8, v0
	v_mov_b32_e32 v3, 0x4000
	v_lshl_add_u32 v7, v0, 11, v3
	v_lshlrev_b32_e32 v6, 3, v2
                                        ; implicit-def: $vgpr2_vgpr3
	s_and_saveexec_b64 s[18:19], s[12:13]
	s_xor_b64 s[18:19], exec, s[18:19]
	s_cbranch_execz .LBB60_21
; %bb.20:
	v_add_u32_e32 v12, 0x1f8, v6
	ds_read2st64_b64 v[8:11], v12 offset0:1 offset1:9
	ds_read_b64 v[2:3], v7 offset:1016
	ds_read_b64 v[16:17], v6 offset:14328
	ds_read2st64_b64 v[12:15], v12 offset0:17 offset1:23
	s_waitcnt lgkmcnt(3)
	v_mul_f32_e32 v7, v11, v11
	v_fmac_f32_e32 v7, v10, v10
	v_div_scale_f32 v18, s[26:27], v7, v7, 1.0
	v_rcp_f32_e32 v19, v18
	v_div_scale_f32 v20, vcc, 1.0, v7, 1.0
	v_fma_f32 v21, -v18, v19, 1.0
	v_fmac_f32_e32 v19, v21, v19
	v_mul_f32_e32 v21, v20, v19
	v_fma_f32 v22, -v18, v21, v20
	v_fmac_f32_e32 v21, v22, v19
	v_fma_f32 v18, -v18, v21, v20
	v_div_fmas_f32 v18, v18, v19, v21
	s_waitcnt lgkmcnt(0)
	v_pk_mul_f32 v[20:21], v[14:15], v[8:9] op_sel:[1,1] op_sel_hi:[1,0] neg_lo:[0,1]
	v_div_fixup_f32 v18, v18, v7, 1.0
	v_pk_fma_f32 v[8:9], v[8:9], v[14:15], v[20:21] op_sel_hi:[1,0,1]
                                        ; implicit-def: $vgpr7
	s_nop 0
	v_pk_add_f32 v[2:3], v[2:3], v[8:9] neg_lo:[0,1] neg_hi:[0,1]
	v_xor_b32_e32 v8, 0x80000000, v13
	v_mov_b32_e32 v9, v12
	v_pk_mul_f32 v[8:9], v[16:17], v[8:9] op_sel:[1,0]
	s_nop 0
	v_pk_fma_f32 v[8:9], v[12:13], v[16:17], v[8:9] op_sel_hi:[1,0,1]
	s_nop 0
	v_pk_add_f32 v[2:3], v[2:3], v[8:9] neg_lo:[0,1] neg_hi:[0,1]
	s_nop 0
	v_xor_b32_e32 v9, 0x80000000, v2
	v_mov_b32_e32 v8, v3
	v_pk_mul_f32 v[8:9], v[10:11], v[8:9] op_sel:[1,0]
	s_nop 0
	v_pk_fma_f32 v[2:3], v[2:3], v[10:11], v[8:9] op_sel_hi:[1,0,1]
	s_nop 0
	v_pk_mul_f32 v[2:3], v[18:19], v[2:3] op_sel_hi:[0,1]
.LBB60_21:
	s_andn2_saveexec_b64 s[18:19], s[18:19]
	s_cbranch_execz .LBB60_23
; %bb.22:
	v_add_u32_e32 v2, 0x1f8, v6
	ds_read2st64_b64 v[8:11], v2 offset0:9 offset1:17
	ds_read_b64 v[2:3], v6 offset:14328
	ds_read_b64 v[12:13], v7 offset:1016
	s_waitcnt lgkmcnt(2)
	v_mul_f32_e32 v7, v9, v9
	v_fmac_f32_e32 v7, v8, v8
	v_div_scale_f32 v15, s[26:27], v7, v7, 1.0
	v_rcp_f32_e32 v16, v15
	v_div_scale_f32 v17, vcc, 1.0, v7, 1.0
	v_xor_b32_e32 v14, 0x80000000, v11
	v_fma_f32 v18, -v15, v16, 1.0
	v_fmac_f32_e32 v16, v18, v16
	v_mul_f32_e32 v18, v17, v16
	v_fma_f32 v19, -v15, v18, v17
	v_fmac_f32_e32 v18, v19, v16
	v_fma_f32 v15, -v15, v18, v17
	v_div_fmas_f32 v15, v15, v16, v18
	v_div_fixup_f32 v16, v15, v7, 1.0
	v_mov_b32_e32 v15, v10
	s_waitcnt lgkmcnt(1)
	v_pk_mul_f32 v[14:15], v[2:3], v[14:15] op_sel:[1,0]
	s_nop 0
	v_pk_fma_f32 v[2:3], v[10:11], v[2:3], v[14:15] op_sel_hi:[1,0,1]
	s_waitcnt lgkmcnt(0)
	v_pk_add_f32 v[2:3], v[12:13], v[2:3] neg_lo:[0,1] neg_hi:[0,1]
	s_nop 0
	v_xor_b32_e32 v11, 0x80000000, v2
	v_mov_b32_e32 v10, v3
	v_pk_mul_f32 v[10:11], v[8:9], v[10:11] op_sel:[1,0]
	s_nop 0
	v_pk_fma_f32 v[2:3], v[2:3], v[8:9], v[10:11] op_sel_hi:[1,0,1]
	s_nop 0
	v_pk_mul_f32 v[2:3], v[16:17], v[2:3] op_sel_hi:[0,1]
.LBB60_23:
	s_or_b64 exec, exec, s[18:19]
	ds_write_b64 v6, v[2:3] offset:13304
.LBB60_24:
	s_or_b64 exec, exec, s[24:25]
	v_or_b32_e32 v6, 0x3000, v1
	s_waitcnt lgkmcnt(0)
	s_barrier
	s_and_saveexec_b64 s[18:19], s[16:17]
	s_cbranch_execz .LBB60_30
; %bb.25:
	v_lshlrev_b32_e32 v2, 7, v0
	v_mov_b32_e32 v3, 0x4000
	v_lshl_add_u32 v8, v0, 10, v3
	v_lshlrev_b32_e32 v7, 3, v2
                                        ; implicit-def: $vgpr2_vgpr3
	s_and_saveexec_b64 s[16:17], s[12:13]
	s_xor_b64 s[16:17], exec, s[16:17]
	s_cbranch_execz .LBB60_27
; %bb.26:
	v_add_u32_e32 v14, 0x1f8, v7
	ds_read2st64_b64 v[10:13], v14 offset1:8
	ds_read_b64 v[2:3], v8 offset:504
	ds_read_b64 v[8:9], v7 offset:13304
	ds_read2st64_b64 v[14:17], v14 offset0:16 offset1:23
	s_waitcnt lgkmcnt(3)
	v_mul_f32_e32 v18, v13, v13
	v_fmac_f32_e32 v18, v12, v12
	v_div_scale_f32 v19, s[24:25], v18, v18, 1.0
	v_rcp_f32_e32 v20, v19
	v_div_scale_f32 v21, vcc, 1.0, v18, 1.0
	v_fma_f32 v22, -v19, v20, 1.0
	v_fmac_f32_e32 v20, v22, v20
	v_mul_f32_e32 v22, v21, v20
	v_fma_f32 v23, -v19, v22, v21
	v_fmac_f32_e32 v22, v23, v20
	v_fma_f32 v19, -v19, v22, v21
	v_div_fmas_f32 v19, v19, v20, v22
	s_waitcnt lgkmcnt(0)
	v_pk_mul_f32 v[20:21], v[16:17], v[10:11] op_sel:[1,1] op_sel_hi:[1,0] neg_lo:[0,1]
	v_div_fixup_f32 v18, v19, v18, 1.0
	v_pk_fma_f32 v[10:11], v[10:11], v[16:17], v[20:21] op_sel_hi:[1,0,1]
	s_nop 0
	v_pk_add_f32 v[2:3], v[2:3], v[10:11] neg_lo:[0,1] neg_hi:[0,1]
	v_xor_b32_e32 v10, 0x80000000, v15
	v_mov_b32_e32 v11, v14
	v_pk_mul_f32 v[10:11], v[8:9], v[10:11] op_sel:[1,0]
	s_nop 0
	v_pk_fma_f32 v[8:9], v[14:15], v[8:9], v[10:11] op_sel_hi:[1,0,1]
	s_nop 0
	v_pk_add_f32 v[2:3], v[2:3], v[8:9] neg_lo:[0,1] neg_hi:[0,1]
	s_nop 0
	v_xor_b32_e32 v9, 0x80000000, v2
	v_mov_b32_e32 v8, v3
	v_pk_mul_f32 v[8:9], v[12:13], v[8:9] op_sel:[1,0]
	s_nop 0
	v_pk_fma_f32 v[2:3], v[2:3], v[12:13], v[8:9] op_sel_hi:[1,0,1]
                                        ; implicit-def: $vgpr8
	s_nop 0
	v_pk_mul_f32 v[2:3], v[18:19], v[2:3] op_sel_hi:[0,1]
.LBB60_27:
	s_andn2_saveexec_b64 s[16:17], s[16:17]
	s_cbranch_execz .LBB60_29
; %bb.28:
	v_add_u32_e32 v2, 0x1f8, v7
	ds_read2st64_b64 v[10:13], v2 offset0:8 offset1:16
	ds_read_b64 v[2:3], v7 offset:13304
	ds_read_b64 v[8:9], v8 offset:504
	s_waitcnt lgkmcnt(2)
	v_mul_f32_e32 v15, v11, v11
	v_fmac_f32_e32 v15, v10, v10
	v_div_scale_f32 v16, s[24:25], v15, v15, 1.0
	v_rcp_f32_e32 v17, v16
	v_div_scale_f32 v18, vcc, 1.0, v15, 1.0
	v_xor_b32_e32 v14, 0x80000000, v13
	v_fma_f32 v19, -v16, v17, 1.0
	v_fmac_f32_e32 v17, v19, v17
	v_mul_f32_e32 v19, v18, v17
	v_fma_f32 v20, -v16, v19, v18
	v_fmac_f32_e32 v19, v20, v17
	v_fma_f32 v16, -v16, v19, v18
	v_div_fmas_f32 v16, v16, v17, v19
	v_div_fixup_f32 v16, v16, v15, 1.0
	v_mov_b32_e32 v15, v12
	s_waitcnt lgkmcnt(1)
	v_pk_mul_f32 v[14:15], v[2:3], v[14:15] op_sel:[1,0]
	s_nop 0
	v_pk_fma_f32 v[2:3], v[12:13], v[2:3], v[14:15] op_sel_hi:[1,0,1]
	s_waitcnt lgkmcnt(0)
	v_pk_add_f32 v[2:3], v[8:9], v[2:3] neg_lo:[0,1] neg_hi:[0,1]
	s_nop 0
	v_xor_b32_e32 v9, 0x80000000, v2
	v_mov_b32_e32 v8, v3
	v_pk_mul_f32 v[8:9], v[10:11], v[8:9] op_sel:[1,0]
	s_nop 0
	v_pk_fma_f32 v[2:3], v[2:3], v[10:11], v[8:9] op_sel_hi:[1,0,1]
	s_nop 0
	v_pk_mul_f32 v[2:3], v[16:17], v[2:3] op_sel_hi:[0,1]
.LBB60_29:
	s_or_b64 exec, exec, s[16:17]
	ds_write_b64 v7, v[2:3] offset:12792
.LBB60_30:
	s_or_b64 exec, exec, s[18:19]
	s_waitcnt lgkmcnt(0)
	s_barrier
	s_and_saveexec_b64 s[16:17], s[14:15]
	s_cbranch_execz .LBB60_36
; %bb.31:
	v_lshlrev_b32_e32 v2, 6, v0
	v_mov_b32_e32 v3, 0x4000
	v_lshl_add_u32 v8, v0, 9, v3
	v_lshlrev_b32_e32 v7, 3, v2
                                        ; implicit-def: $vgpr2_vgpr3
	s_and_saveexec_b64 s[14:15], s[12:13]
	s_xor_b64 s[14:15], exec, s[14:15]
	s_cbranch_execz .LBB60_33
; %bb.32:
	v_add_u32_e32 v2, 0xf8, v7
	ds_read2st64_b64 v[10:13], v2 offset1:8
	v_add_u32_e32 v14, 0x1f8, v7
	ds_read_b64 v[2:3], v8 offset:248
	ds_read_b64 v[8:9], v7 offset:8440
	ds_read2st64_b64 v[14:17], v14 offset0:23 offset1:24
	s_waitcnt lgkmcnt(3)
	v_mul_f32_e32 v18, v13, v13
	v_fmac_f32_e32 v18, v12, v12
	v_div_scale_f32 v19, s[18:19], v18, v18, 1.0
	v_rcp_f32_e32 v20, v19
	v_div_scale_f32 v21, vcc, 1.0, v18, 1.0
	v_fma_f32 v22, -v19, v20, 1.0
	v_fmac_f32_e32 v20, v22, v20
	v_mul_f32_e32 v22, v21, v20
	v_fma_f32 v23, -v19, v22, v21
	v_fmac_f32_e32 v22, v23, v20
	v_fma_f32 v19, -v19, v22, v21
	v_div_fmas_f32 v19, v19, v20, v22
	s_waitcnt lgkmcnt(0)
	v_pk_mul_f32 v[20:21], v[14:15], v[10:11] op_sel:[1,1] op_sel_hi:[1,0] neg_lo:[0,1]
	v_div_fixup_f32 v18, v19, v18, 1.0
	v_pk_fma_f32 v[10:11], v[10:11], v[14:15], v[20:21] op_sel_hi:[1,0,1]
	s_nop 0
	v_pk_add_f32 v[2:3], v[2:3], v[10:11] neg_lo:[0,1] neg_hi:[0,1]
	v_xor_b32_e32 v10, 0x80000000, v9
	v_mov_b32_e32 v11, v8
	v_pk_mul_f32 v[10:11], v[16:17], v[10:11] op_sel:[1,0]
	s_nop 0
	v_pk_fma_f32 v[8:9], v[8:9], v[16:17], v[10:11] op_sel_hi:[1,0,1]
	s_nop 0
	v_pk_add_f32 v[2:3], v[2:3], v[8:9] neg_lo:[0,1] neg_hi:[0,1]
	s_nop 0
	v_xor_b32_e32 v9, 0x80000000, v2
	v_mov_b32_e32 v8, v3
	v_pk_mul_f32 v[8:9], v[12:13], v[8:9] op_sel:[1,0]
	s_nop 0
	v_pk_fma_f32 v[2:3], v[2:3], v[12:13], v[8:9] op_sel_hi:[1,0,1]
                                        ; implicit-def: $vgpr8
	s_nop 0
	v_pk_mul_f32 v[2:3], v[18:19], v[2:3] op_sel_hi:[0,1]
.LBB60_33:
	s_andn2_saveexec_b64 s[14:15], s[14:15]
	s_cbranch_execz .LBB60_35
; %bb.34:
	v_add_u32_e32 v2, 0xf8, v7
	ds_read2st64_b64 v[10:13], v2 offset0:8 offset1:16
	ds_read_b64 v[2:3], v7 offset:12792
	ds_read_b64 v[8:9], v8 offset:248
	s_waitcnt lgkmcnt(2)
	v_mul_f32_e32 v15, v11, v11
	v_fmac_f32_e32 v15, v10, v10
	v_div_scale_f32 v16, s[18:19], v15, v15, 1.0
	v_rcp_f32_e32 v17, v16
	v_div_scale_f32 v18, vcc, 1.0, v15, 1.0
	v_xor_b32_e32 v14, 0x80000000, v13
	v_fma_f32 v19, -v16, v17, 1.0
	v_fmac_f32_e32 v17, v19, v17
	v_mul_f32_e32 v19, v18, v17
	v_fma_f32 v20, -v16, v19, v18
	v_fmac_f32_e32 v19, v20, v17
	v_fma_f32 v16, -v16, v19, v18
	v_div_fmas_f32 v16, v16, v17, v19
	v_div_fixup_f32 v16, v16, v15, 1.0
	v_mov_b32_e32 v15, v12
	s_waitcnt lgkmcnt(1)
	v_pk_mul_f32 v[14:15], v[2:3], v[14:15] op_sel:[1,0]
	s_nop 0
	v_pk_fma_f32 v[2:3], v[12:13], v[2:3], v[14:15] op_sel_hi:[1,0,1]
	s_waitcnt lgkmcnt(0)
	v_pk_add_f32 v[2:3], v[8:9], v[2:3] neg_lo:[0,1] neg_hi:[0,1]
	s_nop 0
	v_xor_b32_e32 v9, 0x80000000, v2
	v_mov_b32_e32 v8, v3
	v_pk_mul_f32 v[8:9], v[10:11], v[8:9] op_sel:[1,0]
	s_nop 0
	v_pk_fma_f32 v[2:3], v[2:3], v[10:11], v[8:9] op_sel_hi:[1,0,1]
	s_nop 0
	v_pk_mul_f32 v[2:3], v[16:17], v[2:3] op_sel_hi:[0,1]
.LBB60_35:
	s_or_b64 exec, exec, s[14:15]
	ds_write_b64 v7, v[2:3] offset:12536
.LBB60_36:
	s_or_b64 exec, exec, s[16:17]
	s_waitcnt lgkmcnt(0)
	s_barrier
	s_and_saveexec_b64 s[14:15], s[10:11]
	s_cbranch_execz .LBB60_42
; %bb.37:
	v_lshlrev_b32_e32 v2, 5, v0
	v_mov_b32_e32 v3, 0x4000
	v_lshl_add_u32 v8, v0, 8, v3
	v_lshlrev_b32_e32 v7, 3, v2
                                        ; implicit-def: $vgpr2_vgpr3
	s_and_saveexec_b64 s[10:11], s[12:13]
	s_xor_b64 s[10:11], exec, s[10:11]
	s_cbranch_execz .LBB60_39
; %bb.38:
	v_add_u32_e32 v2, 0x78, v7
	ds_read2st64_b64 v[10:13], v2 offset1:8
	v_add_u32_e32 v14, 0x2c00, v7
	ds_read_b64 v[2:3], v8 offset:120
	ds_read_b64 v[8:9], v7 offset:8312
	ds_read2_b64 v[14:17], v14 offset0:127 offset1:159
	s_waitcnt lgkmcnt(3)
	v_mul_f32_e32 v18, v13, v13
	v_fmac_f32_e32 v18, v12, v12
	v_div_scale_f32 v19, s[16:17], v18, v18, 1.0
	v_rcp_f32_e32 v20, v19
	v_div_scale_f32 v21, vcc, 1.0, v18, 1.0
	v_fma_f32 v22, -v19, v20, 1.0
	v_fmac_f32_e32 v20, v22, v20
	v_mul_f32_e32 v22, v21, v20
	v_fma_f32 v23, -v19, v22, v21
	v_fmac_f32_e32 v22, v23, v20
	v_fma_f32 v19, -v19, v22, v21
	v_div_fmas_f32 v19, v19, v20, v22
	s_waitcnt lgkmcnt(0)
	v_pk_mul_f32 v[20:21], v[14:15], v[10:11] op_sel:[1,1] op_sel_hi:[1,0] neg_lo:[0,1]
	v_div_fixup_f32 v18, v19, v18, 1.0
	v_pk_fma_f32 v[10:11], v[10:11], v[14:15], v[20:21] op_sel_hi:[1,0,1]
	s_nop 0
	v_pk_add_f32 v[2:3], v[2:3], v[10:11] neg_lo:[0,1] neg_hi:[0,1]
	v_xor_b32_e32 v10, 0x80000000, v9
	v_mov_b32_e32 v11, v8
	v_pk_mul_f32 v[10:11], v[16:17], v[10:11] op_sel:[1,0]
	s_nop 0
	v_pk_fma_f32 v[8:9], v[8:9], v[16:17], v[10:11] op_sel_hi:[1,0,1]
	s_nop 0
	v_pk_add_f32 v[2:3], v[2:3], v[8:9] neg_lo:[0,1] neg_hi:[0,1]
	s_nop 0
	v_xor_b32_e32 v9, 0x80000000, v2
	v_mov_b32_e32 v8, v3
	v_pk_mul_f32 v[8:9], v[12:13], v[8:9] op_sel:[1,0]
	s_nop 0
	v_pk_fma_f32 v[2:3], v[2:3], v[12:13], v[8:9] op_sel_hi:[1,0,1]
                                        ; implicit-def: $vgpr8
	s_nop 0
	v_pk_mul_f32 v[2:3], v[18:19], v[2:3] op_sel_hi:[0,1]
.LBB60_39:
	s_andn2_saveexec_b64 s[10:11], s[10:11]
	s_cbranch_execz .LBB60_41
; %bb.40:
	v_add_u32_e32 v2, 0x78, v7
	ds_read2st64_b64 v[10:13], v2 offset0:8 offset1:16
	ds_read_b64 v[2:3], v7 offset:12536
	ds_read_b64 v[8:9], v8 offset:120
	s_waitcnt lgkmcnt(2)
	v_mul_f32_e32 v15, v11, v11
	v_fmac_f32_e32 v15, v10, v10
	v_div_scale_f32 v16, s[16:17], v15, v15, 1.0
	v_rcp_f32_e32 v17, v16
	v_div_scale_f32 v18, vcc, 1.0, v15, 1.0
	v_xor_b32_e32 v14, 0x80000000, v13
	v_fma_f32 v19, -v16, v17, 1.0
	v_fmac_f32_e32 v17, v19, v17
	v_mul_f32_e32 v19, v18, v17
	v_fma_f32 v20, -v16, v19, v18
	v_fmac_f32_e32 v19, v20, v17
	v_fma_f32 v16, -v16, v19, v18
	v_div_fmas_f32 v16, v16, v17, v19
	v_div_fixup_f32 v16, v16, v15, 1.0
	v_mov_b32_e32 v15, v12
	s_waitcnt lgkmcnt(1)
	v_pk_mul_f32 v[14:15], v[2:3], v[14:15] op_sel:[1,0]
	s_nop 0
	v_pk_fma_f32 v[2:3], v[12:13], v[2:3], v[14:15] op_sel_hi:[1,0,1]
	s_waitcnt lgkmcnt(0)
	v_pk_add_f32 v[2:3], v[8:9], v[2:3] neg_lo:[0,1] neg_hi:[0,1]
	s_nop 0
	v_xor_b32_e32 v9, 0x80000000, v2
	v_mov_b32_e32 v8, v3
	v_pk_mul_f32 v[8:9], v[10:11], v[8:9] op_sel:[1,0]
	s_nop 0
	v_pk_fma_f32 v[2:3], v[2:3], v[10:11], v[8:9] op_sel_hi:[1,0,1]
	s_nop 0
	v_pk_mul_f32 v[2:3], v[16:17], v[2:3] op_sel_hi:[0,1]
.LBB60_41:
	s_or_b64 exec, exec, s[10:11]
	ds_write_b64 v7, v[2:3] offset:12408
.LBB60_42:
	s_or_b64 exec, exec, s[14:15]
	s_waitcnt lgkmcnt(0)
	s_barrier
	s_and_saveexec_b64 s[10:11], s[8:9]
	s_cbranch_execz .LBB60_48
; %bb.43:
	v_lshlrev_b32_e32 v2, 4, v0
	v_mov_b32_e32 v3, 0x4000
	v_lshl_add_u32 v8, v0, 7, v3
	v_lshlrev_b32_e32 v7, 3, v2
                                        ; implicit-def: $vgpr2_vgpr3
	s_and_saveexec_b64 s[8:9], s[12:13]
	s_xor_b64 s[8:9], exec, s[8:9]
	s_cbranch_execz .LBB60_45
; %bb.44:
	v_add_u32_e32 v2, 56, v7
	ds_read2st64_b64 v[10:13], v2 offset1:8
	v_add_u32_e32 v14, 0x2c00, v7
	ds_read_b64 v[2:3], v8 offset:56
	ds_read_b64 v[8:9], v7 offset:8248
	ds_read2_b64 v[14:17], v14 offset0:127 offset1:143
	s_waitcnt lgkmcnt(3)
	v_mul_f32_e32 v18, v13, v13
	v_fmac_f32_e32 v18, v12, v12
	v_div_scale_f32 v19, s[14:15], v18, v18, 1.0
	v_rcp_f32_e32 v20, v19
	v_div_scale_f32 v21, vcc, 1.0, v18, 1.0
	v_fma_f32 v22, -v19, v20, 1.0
	v_fmac_f32_e32 v20, v22, v20
	v_mul_f32_e32 v22, v21, v20
	v_fma_f32 v23, -v19, v22, v21
	v_fmac_f32_e32 v22, v23, v20
	v_fma_f32 v19, -v19, v22, v21
	v_div_fmas_f32 v19, v19, v20, v22
	s_waitcnt lgkmcnt(0)
	v_pk_mul_f32 v[20:21], v[14:15], v[10:11] op_sel:[1,1] op_sel_hi:[1,0] neg_lo:[0,1]
	v_div_fixup_f32 v18, v19, v18, 1.0
	v_pk_fma_f32 v[10:11], v[10:11], v[14:15], v[20:21] op_sel_hi:[1,0,1]
	s_nop 0
	v_pk_add_f32 v[2:3], v[2:3], v[10:11] neg_lo:[0,1] neg_hi:[0,1]
	v_xor_b32_e32 v10, 0x80000000, v9
	v_mov_b32_e32 v11, v8
	v_pk_mul_f32 v[10:11], v[16:17], v[10:11] op_sel:[1,0]
	s_nop 0
	v_pk_fma_f32 v[8:9], v[8:9], v[16:17], v[10:11] op_sel_hi:[1,0,1]
	s_nop 0
	v_pk_add_f32 v[2:3], v[2:3], v[8:9] neg_lo:[0,1] neg_hi:[0,1]
	s_nop 0
	v_xor_b32_e32 v9, 0x80000000, v2
	v_mov_b32_e32 v8, v3
	v_pk_mul_f32 v[8:9], v[12:13], v[8:9] op_sel:[1,0]
	s_nop 0
	v_pk_fma_f32 v[2:3], v[2:3], v[12:13], v[8:9] op_sel_hi:[1,0,1]
                                        ; implicit-def: $vgpr8
	s_nop 0
	v_pk_mul_f32 v[2:3], v[18:19], v[2:3] op_sel_hi:[0,1]
.LBB60_45:
	s_andn2_saveexec_b64 s[8:9], s[8:9]
	s_cbranch_execz .LBB60_47
; %bb.46:
	v_add_u32_e32 v2, 56, v7
	ds_read2st64_b64 v[10:13], v2 offset0:8 offset1:16
	ds_read_b64 v[2:3], v7 offset:12408
	ds_read_b64 v[8:9], v8 offset:56
	s_waitcnt lgkmcnt(2)
	v_mul_f32_e32 v15, v11, v11
	v_fmac_f32_e32 v15, v10, v10
	v_div_scale_f32 v16, s[14:15], v15, v15, 1.0
	v_rcp_f32_e32 v17, v16
	v_div_scale_f32 v18, vcc, 1.0, v15, 1.0
	v_xor_b32_e32 v14, 0x80000000, v13
	v_fma_f32 v19, -v16, v17, 1.0
	v_fmac_f32_e32 v17, v19, v17
	v_mul_f32_e32 v19, v18, v17
	v_fma_f32 v20, -v16, v19, v18
	v_fmac_f32_e32 v19, v20, v17
	v_fma_f32 v16, -v16, v19, v18
	v_div_fmas_f32 v16, v16, v17, v19
	v_div_fixup_f32 v16, v16, v15, 1.0
	v_mov_b32_e32 v15, v12
	s_waitcnt lgkmcnt(1)
	v_pk_mul_f32 v[14:15], v[2:3], v[14:15] op_sel:[1,0]
	s_nop 0
	v_pk_fma_f32 v[2:3], v[12:13], v[2:3], v[14:15] op_sel_hi:[1,0,1]
	s_waitcnt lgkmcnt(0)
	v_pk_add_f32 v[2:3], v[8:9], v[2:3] neg_lo:[0,1] neg_hi:[0,1]
	s_nop 0
	v_xor_b32_e32 v9, 0x80000000, v2
	v_mov_b32_e32 v8, v3
	v_pk_mul_f32 v[8:9], v[10:11], v[8:9] op_sel:[1,0]
	s_nop 0
	v_pk_fma_f32 v[2:3], v[2:3], v[10:11], v[8:9] op_sel_hi:[1,0,1]
	s_nop 0
	v_pk_mul_f32 v[2:3], v[16:17], v[2:3] op_sel_hi:[0,1]
.LBB60_47:
	s_or_b64 exec, exec, s[8:9]
	ds_write_b64 v7, v[2:3] offset:12344
.LBB60_48:
	s_or_b64 exec, exec, s[10:11]
	s_waitcnt lgkmcnt(0)
	s_barrier
	s_and_saveexec_b64 s[8:9], s[6:7]
	s_cbranch_execz .LBB60_54
; %bb.49:
	v_mov_b32_e32 v2, 0x4000
	v_lshl_or_b32 v7, v0, 6, v2
	v_lshlrev_b32_e32 v1, 3, v1
                                        ; implicit-def: $vgpr2_vgpr3
	s_and_saveexec_b64 s[6:7], s[12:13]
	s_xor_b64 s[6:7], exec, s[6:7]
	s_cbranch_execz .LBB60_51
; %bb.50:
	v_add_u32_e32 v2, 24, v1
	ds_read2st64_b64 v[8:11], v2 offset1:8
	ds_read_b64 v[2:3], v7 offset:24
	ds_read_b64 v[16:17], v1 offset:8216
	v_add_u32_e32 v12, 0x2c00, v1
	ds_read2_b64 v[12:15], v12 offset0:127 offset1:135
	s_waitcnt lgkmcnt(3)
	v_mul_f32_e32 v7, v11, v11
	v_fmac_f32_e32 v7, v10, v10
	v_div_scale_f32 v18, s[10:11], v7, v7, 1.0
	v_rcp_f32_e32 v19, v18
	v_div_scale_f32 v20, vcc, 1.0, v7, 1.0
	v_fma_f32 v21, -v18, v19, 1.0
	v_fmac_f32_e32 v19, v21, v19
	v_mul_f32_e32 v21, v20, v19
	v_fma_f32 v22, -v18, v21, v20
	v_fmac_f32_e32 v21, v22, v19
	v_fma_f32 v18, -v18, v21, v20
	v_div_fmas_f32 v18, v18, v19, v21
	s_waitcnt lgkmcnt(0)
	v_pk_mul_f32 v[20:21], v[12:13], v[8:9] op_sel:[1,1] op_sel_hi:[1,0] neg_lo:[0,1]
	v_div_fixup_f32 v18, v18, v7, 1.0
	v_pk_fma_f32 v[8:9], v[8:9], v[12:13], v[20:21] op_sel_hi:[1,0,1]
                                        ; implicit-def: $vgpr7
	s_nop 0
	v_pk_add_f32 v[2:3], v[2:3], v[8:9] neg_lo:[0,1] neg_hi:[0,1]
	v_xor_b32_e32 v8, 0x80000000, v17
	v_mov_b32_e32 v9, v16
	v_pk_mul_f32 v[8:9], v[14:15], v[8:9] op_sel:[1,0]
	s_nop 0
	v_pk_fma_f32 v[8:9], v[16:17], v[14:15], v[8:9] op_sel_hi:[1,0,1]
	s_nop 0
	v_pk_add_f32 v[2:3], v[2:3], v[8:9] neg_lo:[0,1] neg_hi:[0,1]
	s_nop 0
	v_xor_b32_e32 v9, 0x80000000, v2
	v_mov_b32_e32 v8, v3
	v_pk_mul_f32 v[8:9], v[10:11], v[8:9] op_sel:[1,0]
	s_nop 0
	v_pk_fma_f32 v[2:3], v[2:3], v[10:11], v[8:9] op_sel_hi:[1,0,1]
	s_nop 0
	v_pk_mul_f32 v[2:3], v[18:19], v[2:3] op_sel_hi:[0,1]
.LBB60_51:
	s_andn2_saveexec_b64 s[6:7], s[6:7]
	s_cbranch_execz .LBB60_53
; %bb.52:
	v_add_u32_e32 v2, 24, v1
	ds_read2st64_b64 v[8:11], v2 offset0:8 offset1:16
	ds_read_b64 v[2:3], v1 offset:12344
	ds_read_b64 v[12:13], v7 offset:24
	s_waitcnt lgkmcnt(2)
	v_mul_f32_e32 v7, v9, v9
	v_fmac_f32_e32 v7, v8, v8
	v_div_scale_f32 v15, s[10:11], v7, v7, 1.0
	v_rcp_f32_e32 v16, v15
	v_div_scale_f32 v17, vcc, 1.0, v7, 1.0
	v_xor_b32_e32 v14, 0x80000000, v11
	v_fma_f32 v18, -v15, v16, 1.0
	v_fmac_f32_e32 v16, v18, v16
	v_mul_f32_e32 v18, v17, v16
	v_fma_f32 v19, -v15, v18, v17
	v_fmac_f32_e32 v18, v19, v16
	v_fma_f32 v15, -v15, v18, v17
	v_div_fmas_f32 v15, v15, v16, v18
	v_div_fixup_f32 v16, v15, v7, 1.0
	v_mov_b32_e32 v15, v10
	s_waitcnt lgkmcnt(1)
	v_pk_mul_f32 v[14:15], v[2:3], v[14:15] op_sel:[1,0]
	s_nop 0
	v_pk_fma_f32 v[2:3], v[10:11], v[2:3], v[14:15] op_sel_hi:[1,0,1]
	s_waitcnt lgkmcnt(0)
	v_pk_add_f32 v[2:3], v[12:13], v[2:3] neg_lo:[0,1] neg_hi:[0,1]
	s_nop 0
	v_xor_b32_e32 v11, 0x80000000, v2
	v_mov_b32_e32 v10, v3
	v_pk_mul_f32 v[10:11], v[8:9], v[10:11] op_sel:[1,0]
	s_nop 0
	v_pk_fma_f32 v[2:3], v[2:3], v[8:9], v[10:11] op_sel_hi:[1,0,1]
	s_nop 0
	v_pk_mul_f32 v[2:3], v[16:17], v[2:3] op_sel_hi:[0,1]
.LBB60_53:
	s_or_b64 exec, exec, s[6:7]
	ds_write_b64 v1, v[2:3] offset:12312
.LBB60_54:
	s_or_b64 exec, exec, s[8:9]
	s_waitcnt lgkmcnt(0)
	s_barrier
	s_and_saveexec_b64 s[6:7], s[4:5]
	s_cbranch_execz .LBB60_60
; %bb.55:
	v_lshlrev_b32_e32 v1, 2, v0
	v_mov_b32_e32 v2, 0x4000
	v_lshl_or_b32 v7, v0, 5, v2
	v_lshlrev_b32_e32 v1, 3, v1
                                        ; implicit-def: $vgpr2_vgpr3
	s_and_saveexec_b64 s[4:5], s[12:13]
	s_xor_b64 s[4:5], exec, s[4:5]
	s_cbranch_execz .LBB60_57
; %bb.56:
	v_add_u32_e32 v2, 8, v1
	ds_read2st64_b64 v[8:11], v2 offset1:8
	ds_read_b64 v[2:3], v7 offset:8
	ds_read_b64 v[16:17], v1 offset:8200
	v_add_u32_e32 v12, 0x2c00, v1
	ds_read2_b64 v[12:15], v12 offset0:127 offset1:131
	s_waitcnt lgkmcnt(3)
	v_mul_f32_e32 v7, v11, v11
	v_fmac_f32_e32 v7, v10, v10
	v_div_scale_f32 v18, s[8:9], v7, v7, 1.0
	v_rcp_f32_e32 v19, v18
	v_div_scale_f32 v20, vcc, 1.0, v7, 1.0
	v_fma_f32 v21, -v18, v19, 1.0
	v_fmac_f32_e32 v19, v21, v19
	v_mul_f32_e32 v21, v20, v19
	v_fma_f32 v22, -v18, v21, v20
	v_fmac_f32_e32 v21, v22, v19
	v_fma_f32 v18, -v18, v21, v20
	v_div_fmas_f32 v18, v18, v19, v21
	s_waitcnt lgkmcnt(0)
	v_pk_mul_f32 v[20:21], v[12:13], v[8:9] op_sel:[1,1] op_sel_hi:[1,0] neg_lo:[0,1]
	v_div_fixup_f32 v18, v18, v7, 1.0
	v_pk_fma_f32 v[8:9], v[8:9], v[12:13], v[20:21] op_sel_hi:[1,0,1]
                                        ; implicit-def: $vgpr7
	s_nop 0
	v_pk_add_f32 v[2:3], v[2:3], v[8:9] neg_lo:[0,1] neg_hi:[0,1]
	v_xor_b32_e32 v8, 0x80000000, v17
	v_mov_b32_e32 v9, v16
	v_pk_mul_f32 v[8:9], v[14:15], v[8:9] op_sel:[1,0]
	s_nop 0
	v_pk_fma_f32 v[8:9], v[16:17], v[14:15], v[8:9] op_sel_hi:[1,0,1]
	s_nop 0
	v_pk_add_f32 v[2:3], v[2:3], v[8:9] neg_lo:[0,1] neg_hi:[0,1]
	s_nop 0
	v_xor_b32_e32 v9, 0x80000000, v2
	v_mov_b32_e32 v8, v3
	v_pk_mul_f32 v[8:9], v[10:11], v[8:9] op_sel:[1,0]
	s_nop 0
	v_pk_fma_f32 v[2:3], v[2:3], v[10:11], v[8:9] op_sel_hi:[1,0,1]
	s_nop 0
	v_pk_mul_f32 v[2:3], v[18:19], v[2:3] op_sel_hi:[0,1]
.LBB60_57:
	s_andn2_saveexec_b64 s[4:5], s[4:5]
	s_cbranch_execz .LBB60_59
; %bb.58:
	v_add_u32_e32 v2, 8, v1
	ds_read2st64_b64 v[8:11], v2 offset0:8 offset1:16
	ds_read_b64 v[2:3], v1 offset:12312
	ds_read_b64 v[12:13], v7 offset:8
	s_waitcnt lgkmcnt(2)
	v_mul_f32_e32 v7, v9, v9
	v_fmac_f32_e32 v7, v8, v8
	v_div_scale_f32 v15, s[8:9], v7, v7, 1.0
	v_rcp_f32_e32 v16, v15
	v_div_scale_f32 v17, vcc, 1.0, v7, 1.0
	v_xor_b32_e32 v14, 0x80000000, v11
	v_fma_f32 v18, -v15, v16, 1.0
	v_fmac_f32_e32 v16, v18, v16
	v_mul_f32_e32 v18, v17, v16
	v_fma_f32 v19, -v15, v18, v17
	v_fmac_f32_e32 v18, v19, v16
	v_fma_f32 v15, -v15, v18, v17
	v_div_fmas_f32 v15, v15, v16, v18
	v_div_fixup_f32 v16, v15, v7, 1.0
	v_mov_b32_e32 v15, v10
	s_waitcnt lgkmcnt(1)
	v_pk_mul_f32 v[14:15], v[2:3], v[14:15] op_sel:[1,0]
	s_nop 0
	v_pk_fma_f32 v[2:3], v[10:11], v[2:3], v[14:15] op_sel_hi:[1,0,1]
	s_waitcnt lgkmcnt(0)
	v_pk_add_f32 v[2:3], v[12:13], v[2:3] neg_lo:[0,1] neg_hi:[0,1]
	s_nop 0
	v_xor_b32_e32 v11, 0x80000000, v2
	v_mov_b32_e32 v10, v3
	v_pk_mul_f32 v[10:11], v[8:9], v[10:11] op_sel:[1,0]
	s_nop 0
	v_pk_fma_f32 v[2:3], v[2:3], v[8:9], v[10:11] op_sel_hi:[1,0,1]
	s_nop 0
	v_pk_mul_f32 v[2:3], v[16:17], v[2:3] op_sel_hi:[0,1]
.LBB60_59:
	s_or_b64 exec, exec, s[4:5]
	ds_write_b64 v1, v[2:3] offset:12296
.LBB60_60:
	s_or_b64 exec, exec, s[6:7]
	s_waitcnt lgkmcnt(0)
	s_barrier
	s_and_saveexec_b64 s[4:5], s[20:21]
	s_cbranch_execz .LBB60_66
; %bb.61:
	v_lshlrev_b32_e32 v1, 1, v0
	v_mov_b32_e32 v2, 0x4000
	v_lshl_or_b32 v3, v0, 4, v2
	v_lshlrev_b32_e32 v2, 3, v1
                                        ; implicit-def: $vgpr0_vgpr1
	s_and_saveexec_b64 s[6:7], s[12:13]
	s_xor_b64 s[6:7], exec, s[6:7]
	s_cbranch_execz .LBB60_63
; %bb.62:
	ds_read2st64_b64 v[8:11], v2 offset1:8
	ds_read_b64 v[0:1], v3
	ds_read_b64 v[16:17], v2 offset:8192
	v_add_u32_e32 v7, 0x2c00, v2
	ds_read2_b64 v[12:15], v7 offset0:127 offset1:129
	s_waitcnt lgkmcnt(3)
	v_mul_f32_e32 v3, v11, v11
	v_fmac_f32_e32 v3, v10, v10
	v_div_scale_f32 v18, s[8:9], v3, v3, 1.0
	v_rcp_f32_e32 v19, v18
	v_div_scale_f32 v7, vcc, 1.0, v3, 1.0
	v_fma_f32 v20, -v18, v19, 1.0
	v_fmac_f32_e32 v19, v20, v19
	v_mul_f32_e32 v20, v7, v19
	v_fma_f32 v21, -v18, v20, v7
	v_fmac_f32_e32 v20, v21, v19
	v_fma_f32 v7, -v18, v20, v7
	v_div_fmas_f32 v7, v7, v19, v20
	s_waitcnt lgkmcnt(0)
	v_pk_mul_f32 v[20:21], v[12:13], v[8:9] op_sel:[1,1] op_sel_hi:[1,0] neg_lo:[0,1]
	v_div_fixup_f32 v18, v7, v3, 1.0
	v_pk_fma_f32 v[8:9], v[8:9], v[12:13], v[20:21] op_sel_hi:[1,0,1]
                                        ; implicit-def: $vgpr3
	s_nop 0
	v_pk_add_f32 v[0:1], v[0:1], v[8:9] neg_lo:[0,1] neg_hi:[0,1]
	v_xor_b32_e32 v8, 0x80000000, v17
	v_mov_b32_e32 v9, v16
	v_pk_mul_f32 v[8:9], v[14:15], v[8:9] op_sel:[1,0]
	s_nop 0
	v_pk_fma_f32 v[8:9], v[16:17], v[14:15], v[8:9] op_sel_hi:[1,0,1]
	s_nop 0
	v_pk_add_f32 v[0:1], v[0:1], v[8:9] neg_lo:[0,1] neg_hi:[0,1]
	s_nop 0
	v_xor_b32_e32 v9, 0x80000000, v0
	v_mov_b32_e32 v8, v1
	v_pk_mul_f32 v[8:9], v[10:11], v[8:9] op_sel:[1,0]
	s_nop 0
	v_pk_fma_f32 v[0:1], v[0:1], v[10:11], v[8:9] op_sel_hi:[1,0,1]
	s_nop 0
	v_pk_mul_f32 v[0:1], v[18:19], v[0:1] op_sel_hi:[0,1]
.LBB60_63:
	s_andn2_saveexec_b64 s[6:7], s[6:7]
	s_cbranch_execz .LBB60_65
; %bb.64:
	ds_read2st64_b64 v[8:11], v2 offset0:8 offset1:16
	ds_read_b64 v[0:1], v2 offset:12296
	ds_read_b64 v[12:13], v3
	s_waitcnt lgkmcnt(2)
	v_mul_f32_e32 v3, v9, v9
	v_fmac_f32_e32 v3, v8, v8
	v_div_scale_f32 v7, s[8:9], v3, v3, 1.0
	v_rcp_f32_e32 v15, v7
	v_div_scale_f32 v16, vcc, 1.0, v3, 1.0
	v_xor_b32_e32 v14, 0x80000000, v11
	v_fma_f32 v17, -v7, v15, 1.0
	v_fmac_f32_e32 v15, v17, v15
	v_mul_f32_e32 v17, v16, v15
	v_fma_f32 v18, -v7, v17, v16
	v_fmac_f32_e32 v17, v18, v15
	v_fma_f32 v7, -v7, v17, v16
	v_div_fmas_f32 v7, v7, v15, v17
	v_mov_b32_e32 v15, v10
	s_waitcnt lgkmcnt(1)
	v_pk_mul_f32 v[14:15], v[0:1], v[14:15] op_sel:[1,0]
	v_div_fixup_f32 v16, v7, v3, 1.0
	v_pk_fma_f32 v[0:1], v[10:11], v[0:1], v[14:15] op_sel_hi:[1,0,1]
	s_waitcnt lgkmcnt(0)
	v_pk_add_f32 v[0:1], v[12:13], v[0:1] neg_lo:[0,1] neg_hi:[0,1]
	s_nop 0
	v_xor_b32_e32 v11, 0x80000000, v0
	v_mov_b32_e32 v10, v1
	v_pk_mul_f32 v[10:11], v[8:9], v[10:11] op_sel:[1,0]
	s_nop 0
	v_pk_fma_f32 v[0:1], v[0:1], v[8:9], v[10:11] op_sel_hi:[1,0,1]
	s_nop 0
	v_pk_mul_f32 v[0:1], v[16:17], v[0:1] op_sel_hi:[0,1]
.LBB60_65:
	s_or_b64 exec, exec, s[6:7]
	ds_write_b64 v2, v[0:1] offset:12288
.LBB60_66:
	s_or_b64 exec, exec, s[4:5]
	s_load_dword s0, s[0:1], 0x8
	s_waitcnt lgkmcnt(0)
	s_barrier
	ds_read2st64_b64 v[0:3], v6 offset1:4
	s_mul_i32 s0, s0, s3
	v_add_u32_e32 v6, s0, v4
	v_mov_b32_e32 v7, 0
	v_lshl_add_u64 v[8:9], v[6:7], 3, s[22:23]
	v_add_u32_e32 v6, s0, v5
	s_waitcnt lgkmcnt(0)
	global_store_dwordx2 v[8:9], v[0:1], off
	v_lshl_add_u64 v[0:1], v[6:7], 3, s[22:23]
	global_store_dwordx2 v[0:1], v[2:3], off
	s_endpgm
	.section	.rodata,"a",@progbits
	.p2align	6, 0x0
	.amdhsa_kernel _ZN9rocsparseL48gtsv_nopivot_strided_batch_cr_pow2_stage2_kernelILj256E21rocsparse_complex_numIfEEEviiiPKT0_S5_S5_S5_PS3_
		.amdhsa_group_segment_fixed_size 20480
		.amdhsa_private_segment_fixed_size 0
		.amdhsa_kernarg_size 312
		.amdhsa_user_sgpr_count 2
		.amdhsa_user_sgpr_dispatch_ptr 0
		.amdhsa_user_sgpr_queue_ptr 0
		.amdhsa_user_sgpr_kernarg_segment_ptr 1
		.amdhsa_user_sgpr_dispatch_id 0
		.amdhsa_user_sgpr_kernarg_preload_length 0
		.amdhsa_user_sgpr_kernarg_preload_offset 0
		.amdhsa_user_sgpr_private_segment_size 0
		.amdhsa_uses_dynamic_stack 0
		.amdhsa_enable_private_segment 0
		.amdhsa_system_sgpr_workgroup_id_x 1
		.amdhsa_system_sgpr_workgroup_id_y 1
		.amdhsa_system_sgpr_workgroup_id_z 0
		.amdhsa_system_sgpr_workgroup_info 0
		.amdhsa_system_vgpr_workitem_id 0
		.amdhsa_next_free_vgpr 32
		.amdhsa_next_free_sgpr 28
		.amdhsa_accum_offset 32
		.amdhsa_reserve_vcc 1
		.amdhsa_float_round_mode_32 0
		.amdhsa_float_round_mode_16_64 0
		.amdhsa_float_denorm_mode_32 3
		.amdhsa_float_denorm_mode_16_64 3
		.amdhsa_dx10_clamp 1
		.amdhsa_ieee_mode 1
		.amdhsa_fp16_overflow 0
		.amdhsa_tg_split 0
		.amdhsa_exception_fp_ieee_invalid_op 0
		.amdhsa_exception_fp_denorm_src 0
		.amdhsa_exception_fp_ieee_div_zero 0
		.amdhsa_exception_fp_ieee_overflow 0
		.amdhsa_exception_fp_ieee_underflow 0
		.amdhsa_exception_fp_ieee_inexact 0
		.amdhsa_exception_int_div_zero 0
	.end_amdhsa_kernel
	.section	.text._ZN9rocsparseL48gtsv_nopivot_strided_batch_cr_pow2_stage2_kernelILj256E21rocsparse_complex_numIfEEEviiiPKT0_S5_S5_S5_PS3_,"axG",@progbits,_ZN9rocsparseL48gtsv_nopivot_strided_batch_cr_pow2_stage2_kernelILj256E21rocsparse_complex_numIfEEEviiiPKT0_S5_S5_S5_PS3_,comdat
.Lfunc_end60:
	.size	_ZN9rocsparseL48gtsv_nopivot_strided_batch_cr_pow2_stage2_kernelILj256E21rocsparse_complex_numIfEEEviiiPKT0_S5_S5_S5_PS3_, .Lfunc_end60-_ZN9rocsparseL48gtsv_nopivot_strided_batch_cr_pow2_stage2_kernelILj256E21rocsparse_complex_numIfEEEviiiPKT0_S5_S5_S5_PS3_
                                        ; -- End function
	.set _ZN9rocsparseL48gtsv_nopivot_strided_batch_cr_pow2_stage2_kernelILj256E21rocsparse_complex_numIfEEEviiiPKT0_S5_S5_S5_PS3_.num_vgpr, 32
	.set _ZN9rocsparseL48gtsv_nopivot_strided_batch_cr_pow2_stage2_kernelILj256E21rocsparse_complex_numIfEEEviiiPKT0_S5_S5_S5_PS3_.num_agpr, 0
	.set _ZN9rocsparseL48gtsv_nopivot_strided_batch_cr_pow2_stage2_kernelILj256E21rocsparse_complex_numIfEEEviiiPKT0_S5_S5_S5_PS3_.numbered_sgpr, 28
	.set _ZN9rocsparseL48gtsv_nopivot_strided_batch_cr_pow2_stage2_kernelILj256E21rocsparse_complex_numIfEEEviiiPKT0_S5_S5_S5_PS3_.num_named_barrier, 0
	.set _ZN9rocsparseL48gtsv_nopivot_strided_batch_cr_pow2_stage2_kernelILj256E21rocsparse_complex_numIfEEEviiiPKT0_S5_S5_S5_PS3_.private_seg_size, 0
	.set _ZN9rocsparseL48gtsv_nopivot_strided_batch_cr_pow2_stage2_kernelILj256E21rocsparse_complex_numIfEEEviiiPKT0_S5_S5_S5_PS3_.uses_vcc, 1
	.set _ZN9rocsparseL48gtsv_nopivot_strided_batch_cr_pow2_stage2_kernelILj256E21rocsparse_complex_numIfEEEviiiPKT0_S5_S5_S5_PS3_.uses_flat_scratch, 0
	.set _ZN9rocsparseL48gtsv_nopivot_strided_batch_cr_pow2_stage2_kernelILj256E21rocsparse_complex_numIfEEEviiiPKT0_S5_S5_S5_PS3_.has_dyn_sized_stack, 0
	.set _ZN9rocsparseL48gtsv_nopivot_strided_batch_cr_pow2_stage2_kernelILj256E21rocsparse_complex_numIfEEEviiiPKT0_S5_S5_S5_PS3_.has_recursion, 0
	.set _ZN9rocsparseL48gtsv_nopivot_strided_batch_cr_pow2_stage2_kernelILj256E21rocsparse_complex_numIfEEEviiiPKT0_S5_S5_S5_PS3_.has_indirect_call, 0
	.section	.AMDGPU.csdata,"",@progbits
; Kernel info:
; codeLenInByte = 10240
; TotalNumSgprs: 34
; NumVgprs: 32
; NumAgprs: 0
; TotalNumVgprs: 32
; ScratchSize: 0
; MemoryBound: 0
; FloatMode: 240
; IeeeMode: 1
; LDSByteSize: 20480 bytes/workgroup (compile time only)
; SGPRBlocks: 4
; VGPRBlocks: 3
; NumSGPRsForWavesPerEU: 34
; NumVGPRsForWavesPerEU: 32
; AccumOffset: 32
; Occupancy: 8
; WaveLimiterHint : 0
; COMPUTE_PGM_RSRC2:SCRATCH_EN: 0
; COMPUTE_PGM_RSRC2:USER_SGPR: 2
; COMPUTE_PGM_RSRC2:TRAP_HANDLER: 0
; COMPUTE_PGM_RSRC2:TGID_X_EN: 1
; COMPUTE_PGM_RSRC2:TGID_Y_EN: 1
; COMPUTE_PGM_RSRC2:TGID_Z_EN: 0
; COMPUTE_PGM_RSRC2:TIDIG_COMP_CNT: 0
; COMPUTE_PGM_RSRC3_GFX90A:ACCUM_OFFSET: 7
; COMPUTE_PGM_RSRC3_GFX90A:TG_SPLIT: 0
	.section	.text._ZN9rocsparseL44gtsv_nopivot_strided_batch_pcr_stage1_kernelILj256E21rocsparse_complex_numIfEEEviiiiPKT0_S5_S5_S5_PS3_S6_S6_S6_,"axG",@progbits,_ZN9rocsparseL44gtsv_nopivot_strided_batch_pcr_stage1_kernelILj256E21rocsparse_complex_numIfEEEviiiiPKT0_S5_S5_S5_PS3_S6_S6_S6_,comdat
	.globl	_ZN9rocsparseL44gtsv_nopivot_strided_batch_pcr_stage1_kernelILj256E21rocsparse_complex_numIfEEEviiiiPKT0_S5_S5_S5_PS3_S6_S6_S6_ ; -- Begin function _ZN9rocsparseL44gtsv_nopivot_strided_batch_pcr_stage1_kernelILj256E21rocsparse_complex_numIfEEEviiiiPKT0_S5_S5_S5_PS3_S6_S6_S6_
	.p2align	8
	.type	_ZN9rocsparseL44gtsv_nopivot_strided_batch_pcr_stage1_kernelILj256E21rocsparse_complex_numIfEEEviiiiPKT0_S5_S5_S5_PS3_S6_S6_S6_,@function
_ZN9rocsparseL44gtsv_nopivot_strided_batch_pcr_stage1_kernelILj256E21rocsparse_complex_numIfEEEviiiiPKT0_S5_S5_S5_PS3_S6_S6_S6_: ; @_ZN9rocsparseL44gtsv_nopivot_strided_batch_pcr_stage1_kernelILj256E21rocsparse_complex_numIfEEEviiiiPKT0_S5_S5_S5_PS3_S6_S6_S6_
; %bb.0:
	s_load_dwordx2 s[20:21], s[0:1], 0x0
	v_lshl_or_b32 v0, s2, 8, v0
	s_waitcnt lgkmcnt(0)
	v_cmp_gt_i32_e32 vcc, s21, v0
	s_and_saveexec_b64 s[4:5], vcc
	s_cbranch_execz .LBB61_2
; %bb.1:
	s_load_dword s2, s[0:1], 0xc
	s_load_dwordx8 s[4:11], s[0:1], 0x30
	s_load_dwordx8 s[12:19], s[0:1], 0x10
	s_mul_i32 s0, s21, s3
	v_subrev_u32_e32 v1, s20, v0
	s_waitcnt lgkmcnt(0)
	s_mul_i32 s2, s2, s3
	s_ashr_i32 s3, s2, 31
	s_lshl_b64 s[24:25], s[2:3], 3
	s_add_u32 s12, s12, s24
	s_addc_u32 s13, s13, s25
	s_ashr_i32 s1, s0, 31
	s_lshl_b64 s[22:23], s[0:1], 3
	s_add_u32 s2, s4, s22
	s_addc_u32 s3, s5, s23
	s_add_u32 s14, s14, s24
	s_addc_u32 s15, s15, s25
	v_max_i32_e32 v2, 0, v1
	v_mov_b32_e32 v3, 0
	v_ashrrev_i32_e32 v1, 31, v0
	v_lshlrev_b64 v[2:3], 3, v[2:3]
	s_add_u32 s4, s6, s22
	v_lshlrev_b64 v[4:5], 3, v[0:1]
	v_lshl_add_u64 v[8:9], s[14:15], 0, v[2:3]
	s_addc_u32 s5, s7, s23
	v_lshl_add_u64 v[6:7], s[12:13], 0, v[4:5]
	global_load_dwordx2 v[10:11], v[8:9], off
	global_load_dwordx2 v[12:13], v[6:7], off
	s_add_u32 s6, s16, s24
	s_addc_u32 s7, s17, s25
	s_add_u32 s0, s8, s22
	s_addc_u32 s1, s9, s23
	s_add_u32 s8, s18, s24
	s_addc_u32 s9, s19, s25
	s_add_u32 s10, s10, s22
	s_addc_u32 s11, s11, s23
	v_add_u32_e32 v0, s20, v0
	s_add_i32 s16, s21, -1
	v_min_i32_e32 v0, s16, v0
	v_ashrrev_i32_e32 v1, 31, v0
	v_lshlrev_b64 v[0:1], 3, v[0:1]
	v_lshl_add_u64 v[6:7], s[6:7], 0, v[2:3]
	v_lshl_add_u64 v[14:15], s[14:15], 0, v[0:1]
	global_load_dwordx2 v[6:7], v[6:7], off
	v_lshl_add_u64 v[8:9], s[6:7], 0, v[4:5]
	global_load_dwordx2 v[16:17], v[14:15], off
	global_load_dwordx2 v[18:19], v[8:9], off
	v_lshl_add_u64 v[14:15], s[8:9], 0, v[2:3]
	global_load_dwordx2 v[14:15], v[14:15], off
	v_lshl_add_u64 v[8:9], s[12:13], 0, v[0:1]
	v_lshl_add_u64 v[22:23], s[14:15], 0, v[4:5]
	global_load_dwordx2 v[8:9], v[8:9], off
	v_lshl_add_u64 v[20:21], s[8:9], 0, v[0:1]
	global_load_dwordx2 v[22:23], v[22:23], off
	;; [unrolled: 2-line block ×6, first 2 shown]
	v_lshl_add_u64 v[28:29], s[4:5], 0, v[4:5]
	v_lshl_add_u64 v[30:31], s[10:11], 0, v[4:5]
	s_waitcnt vmcnt(11)
	v_mul_f32_e32 v36, v11, v11
	s_waitcnt vmcnt(10)
	v_mul_f32_e32 v37, v11, v13
	v_fmac_f32_e32 v36, v10, v10
	v_mul_f32_e64 v38, v11, -v12
	v_fmac_f32_e32 v37, v12, v10
	v_div_scale_f32 v12, s[2:3], v36, v36, 1.0
	v_fmac_f32_e32 v38, v13, v10
	v_rcp_f32_e32 v13, v12
	v_div_scale_f32 v32, vcc, 1.0, v36, 1.0
	v_fma_f32 v33, -v12, v13, 1.0
	v_fmac_f32_e32 v13, v33, v13
	v_mul_f32_e32 v33, v32, v13
	v_fma_f32 v34, -v12, v33, v32
	v_fmac_f32_e32 v33, v34, v13
	v_fma_f32 v12, -v12, v33, v32
	s_waitcnt vmcnt(8)
	v_mul_f32_e32 v40, v17, v17
	v_div_fmas_f32 v39, v12, v13, v33
	s_waitcnt vmcnt(7)
	v_mul_f32_e32 v41, v17, v19
	v_mul_f32_e64 v17, v17, -v18
	v_fmac_f32_e32 v40, v16, v16
	v_div_fixup_f32 v36, v39, v36, 1.0
	v_fmac_f32_e32 v17, v19, v16
	v_div_scale_f32 v19, s[2:3], v40, v40, 1.0
	v_fmac_f32_e32 v41, v18, v16
	v_mul_f32_e32 v16, v36, v37
	v_rcp_f32_e32 v37, v19
	v_xor_b32_e32 v10, 0x80000000, v7
	v_mov_b32_e32 v11, v6
	s_waitcnt vmcnt(6)
	v_xor_b32_e32 v32, 0x80000000, v15
	v_mov_b32_e32 v33, v14
	v_mul_f32_e32 v18, v38, v36
	v_pk_mul_f32 v[10:11], v[18:19], v[10:11] op_sel_hi:[0,1]
	v_pk_mul_f32 v[32:33], v[18:19], v[32:33] op_sel_hi:[0,1]
	v_pk_fma_f32 v[6:7], v[6:7], v[16:17], v[10:11] op_sel_hi:[1,0,1]
	v_pk_fma_f32 v[10:11], v[14:15], v[16:17], v[32:33] op_sel_hi:[1,0,1]
	v_fma_f32 v14, -v19, v37, 1.0
	v_div_scale_f32 v36, vcc, 1.0, v40, 1.0
	v_fmac_f32_e32 v37, v14, v37
	v_mul_f32_e32 v14, v36, v37
	v_fma_f32 v15, -v19, v14, v36
	v_fmac_f32_e32 v14, v15, v37
	v_fma_f32 v15, -v19, v14, v36
	v_div_fmas_f32 v14, v15, v37, v14
	v_div_fixup_f32 v15, v14, v40, 1.0
	s_waitcnt vmcnt(5)
	v_xor_b32_e32 v12, 0x80000000, v9
	v_mov_b32_e32 v13, v8
	s_waitcnt vmcnt(4)
	v_pk_add_f32 v[6:7], v[22:23], v[6:7] neg_lo:[0,1] neg_hi:[0,1]
	v_mul_f32_e32 v22, v17, v15
	s_waitcnt vmcnt(3)
	v_xor_b32_e32 v34, 0x80000000, v21
	v_mov_b32_e32 v35, v20
	v_mul_f32_e32 v14, v15, v41
	v_pk_mul_f32 v[12:13], v[22:23], v[12:13] op_sel_hi:[0,1]
	s_waitcnt vmcnt(2)
	v_pk_add_f32 v[10:11], v[24:25], v[10:11] neg_lo:[0,1] neg_hi:[0,1]
	v_pk_mul_f32 v[24:25], v[22:23], v[34:35] op_sel_hi:[0,1]
	v_pk_fma_f32 v[8:9], v[8:9], v[14:15], v[12:13] op_sel_hi:[1,0,1]
	v_pk_fma_f32 v[12:13], v[20:21], v[14:15], v[24:25] op_sel_hi:[1,0,1]
	v_pk_add_f32 v[6:7], v[6:7], v[8:9] neg_lo:[0,1] neg_hi:[0,1]
	v_pk_add_f32 v[8:9], v[10:11], v[12:13] neg_lo:[0,1] neg_hi:[0,1]
	global_store_dwordx2 v[28:29], v[6:7], off
	global_store_dwordx2 v[30:31], v[8:9], off
	s_waitcnt vmcnt(3)
	v_pk_add_f32 v[6:7], v[2:3], 0 neg_lo:[1,1] neg_hi:[1,1]
	s_nop 0
	v_pk_mov_b32 v[6:7], v[2:3], v[6:7] op_sel:[1,0]
	s_nop 0
	v_pk_mul_f32 v[6:7], v[18:19], v[6:7] op_sel_hi:[0,1]
	v_pk_fma_f32 v[2:3], v[2:3], v[16:17], v[6:7] op_sel_hi:[1,0,1] neg_lo:[1,0,0] neg_hi:[1,0,0]
	global_store_dwordx2 v[26:27], v[2:3], off
	v_lshl_add_u64 v[2:3], s[0:1], 0, v[4:5]
	s_waitcnt vmcnt(3)
	v_pk_add_f32 v[4:5], v[0:1], 0 neg_lo:[1,1] neg_hi:[1,1]
	s_nop 0
	v_pk_mov_b32 v[4:5], v[0:1], v[4:5] op_sel:[1,0]
	s_nop 0
	v_pk_mul_f32 v[4:5], v[22:23], v[4:5] op_sel_hi:[0,1]
	v_pk_fma_f32 v[0:1], v[0:1], v[14:15], v[4:5] op_sel_hi:[1,0,1] neg_lo:[1,0,0] neg_hi:[1,0,0]
	global_store_dwordx2 v[2:3], v[0:1], off
.LBB61_2:
	s_endpgm
	.section	.rodata,"a",@progbits
	.p2align	6, 0x0
	.amdhsa_kernel _ZN9rocsparseL44gtsv_nopivot_strided_batch_pcr_stage1_kernelILj256E21rocsparse_complex_numIfEEEviiiiPKT0_S5_S5_S5_PS3_S6_S6_S6_
		.amdhsa_group_segment_fixed_size 0
		.amdhsa_private_segment_fixed_size 0
		.amdhsa_kernarg_size 80
		.amdhsa_user_sgpr_count 2
		.amdhsa_user_sgpr_dispatch_ptr 0
		.amdhsa_user_sgpr_queue_ptr 0
		.amdhsa_user_sgpr_kernarg_segment_ptr 1
		.amdhsa_user_sgpr_dispatch_id 0
		.amdhsa_user_sgpr_kernarg_preload_length 0
		.amdhsa_user_sgpr_kernarg_preload_offset 0
		.amdhsa_user_sgpr_private_segment_size 0
		.amdhsa_uses_dynamic_stack 0
		.amdhsa_enable_private_segment 0
		.amdhsa_system_sgpr_workgroup_id_x 1
		.amdhsa_system_sgpr_workgroup_id_y 1
		.amdhsa_system_sgpr_workgroup_id_z 0
		.amdhsa_system_sgpr_workgroup_info 0
		.amdhsa_system_vgpr_workitem_id 0
		.amdhsa_next_free_vgpr 42
		.amdhsa_next_free_sgpr 26
		.amdhsa_accum_offset 44
		.amdhsa_reserve_vcc 1
		.amdhsa_float_round_mode_32 0
		.amdhsa_float_round_mode_16_64 0
		.amdhsa_float_denorm_mode_32 3
		.amdhsa_float_denorm_mode_16_64 3
		.amdhsa_dx10_clamp 1
		.amdhsa_ieee_mode 1
		.amdhsa_fp16_overflow 0
		.amdhsa_tg_split 0
		.amdhsa_exception_fp_ieee_invalid_op 0
		.amdhsa_exception_fp_denorm_src 0
		.amdhsa_exception_fp_ieee_div_zero 0
		.amdhsa_exception_fp_ieee_overflow 0
		.amdhsa_exception_fp_ieee_underflow 0
		.amdhsa_exception_fp_ieee_inexact 0
		.amdhsa_exception_int_div_zero 0
	.end_amdhsa_kernel
	.section	.text._ZN9rocsparseL44gtsv_nopivot_strided_batch_pcr_stage1_kernelILj256E21rocsparse_complex_numIfEEEviiiiPKT0_S5_S5_S5_PS3_S6_S6_S6_,"axG",@progbits,_ZN9rocsparseL44gtsv_nopivot_strided_batch_pcr_stage1_kernelILj256E21rocsparse_complex_numIfEEEviiiiPKT0_S5_S5_S5_PS3_S6_S6_S6_,comdat
.Lfunc_end61:
	.size	_ZN9rocsparseL44gtsv_nopivot_strided_batch_pcr_stage1_kernelILj256E21rocsparse_complex_numIfEEEviiiiPKT0_S5_S5_S5_PS3_S6_S6_S6_, .Lfunc_end61-_ZN9rocsparseL44gtsv_nopivot_strided_batch_pcr_stage1_kernelILj256E21rocsparse_complex_numIfEEEviiiiPKT0_S5_S5_S5_PS3_S6_S6_S6_
                                        ; -- End function
	.set _ZN9rocsparseL44gtsv_nopivot_strided_batch_pcr_stage1_kernelILj256E21rocsparse_complex_numIfEEEviiiiPKT0_S5_S5_S5_PS3_S6_S6_S6_.num_vgpr, 42
	.set _ZN9rocsparseL44gtsv_nopivot_strided_batch_pcr_stage1_kernelILj256E21rocsparse_complex_numIfEEEviiiiPKT0_S5_S5_S5_PS3_S6_S6_S6_.num_agpr, 0
	.set _ZN9rocsparseL44gtsv_nopivot_strided_batch_pcr_stage1_kernelILj256E21rocsparse_complex_numIfEEEviiiiPKT0_S5_S5_S5_PS3_S6_S6_S6_.numbered_sgpr, 26
	.set _ZN9rocsparseL44gtsv_nopivot_strided_batch_pcr_stage1_kernelILj256E21rocsparse_complex_numIfEEEviiiiPKT0_S5_S5_S5_PS3_S6_S6_S6_.num_named_barrier, 0
	.set _ZN9rocsparseL44gtsv_nopivot_strided_batch_pcr_stage1_kernelILj256E21rocsparse_complex_numIfEEEviiiiPKT0_S5_S5_S5_PS3_S6_S6_S6_.private_seg_size, 0
	.set _ZN9rocsparseL44gtsv_nopivot_strided_batch_pcr_stage1_kernelILj256E21rocsparse_complex_numIfEEEviiiiPKT0_S5_S5_S5_PS3_S6_S6_S6_.uses_vcc, 1
	.set _ZN9rocsparseL44gtsv_nopivot_strided_batch_pcr_stage1_kernelILj256E21rocsparse_complex_numIfEEEviiiiPKT0_S5_S5_S5_PS3_S6_S6_S6_.uses_flat_scratch, 0
	.set _ZN9rocsparseL44gtsv_nopivot_strided_batch_pcr_stage1_kernelILj256E21rocsparse_complex_numIfEEEviiiiPKT0_S5_S5_S5_PS3_S6_S6_S6_.has_dyn_sized_stack, 0
	.set _ZN9rocsparseL44gtsv_nopivot_strided_batch_pcr_stage1_kernelILj256E21rocsparse_complex_numIfEEEviiiiPKT0_S5_S5_S5_PS3_S6_S6_S6_.has_recursion, 0
	.set _ZN9rocsparseL44gtsv_nopivot_strided_batch_pcr_stage1_kernelILj256E21rocsparse_complex_numIfEEEviiiiPKT0_S5_S5_S5_PS3_S6_S6_S6_.has_indirect_call, 0
	.section	.AMDGPU.csdata,"",@progbits
; Kernel info:
; codeLenInByte = 948
; TotalNumSgprs: 32
; NumVgprs: 42
; NumAgprs: 0
; TotalNumVgprs: 42
; ScratchSize: 0
; MemoryBound: 0
; FloatMode: 240
; IeeeMode: 1
; LDSByteSize: 0 bytes/workgroup (compile time only)
; SGPRBlocks: 3
; VGPRBlocks: 5
; NumSGPRsForWavesPerEU: 32
; NumVGPRsForWavesPerEU: 42
; AccumOffset: 44
; Occupancy: 8
; WaveLimiterHint : 0
; COMPUTE_PGM_RSRC2:SCRATCH_EN: 0
; COMPUTE_PGM_RSRC2:USER_SGPR: 2
; COMPUTE_PGM_RSRC2:TRAP_HANDLER: 0
; COMPUTE_PGM_RSRC2:TGID_X_EN: 1
; COMPUTE_PGM_RSRC2:TGID_Y_EN: 1
; COMPUTE_PGM_RSRC2:TGID_Z_EN: 0
; COMPUTE_PGM_RSRC2:TIDIG_COMP_CNT: 0
; COMPUTE_PGM_RSRC3_GFX90A:ACCUM_OFFSET: 10
; COMPUTE_PGM_RSRC3_GFX90A:TG_SPLIT: 0
	.section	.text._ZN9rocsparseL44gtsv_nopivot_strided_batch_pcr_stage2_kernelILj512E21rocsparse_complex_numIfEEEviiiPKT0_S5_S5_S5_PS3_,"axG",@progbits,_ZN9rocsparseL44gtsv_nopivot_strided_batch_pcr_stage2_kernelILj512E21rocsparse_complex_numIfEEEviiiPKT0_S5_S5_S5_PS3_,comdat
	.globl	_ZN9rocsparseL44gtsv_nopivot_strided_batch_pcr_stage2_kernelILj512E21rocsparse_complex_numIfEEEviiiPKT0_S5_S5_S5_PS3_ ; -- Begin function _ZN9rocsparseL44gtsv_nopivot_strided_batch_pcr_stage2_kernelILj512E21rocsparse_complex_numIfEEEviiiPKT0_S5_S5_S5_PS3_
	.p2align	8
	.type	_ZN9rocsparseL44gtsv_nopivot_strided_batch_pcr_stage2_kernelILj512E21rocsparse_complex_numIfEEEviiiPKT0_S5_S5_S5_PS3_,@function
_ZN9rocsparseL44gtsv_nopivot_strided_batch_pcr_stage2_kernelILj512E21rocsparse_complex_numIfEEEviiiPKT0_S5_S5_S5_PS3_: ; @_ZN9rocsparseL44gtsv_nopivot_strided_batch_pcr_stage2_kernelILj512E21rocsparse_complex_numIfEEEviiiPKT0_S5_S5_S5_PS3_
; %bb.0:
	s_load_dword s4, s[0:1], 0x38
	s_load_dword s5, s[0:1], 0x0
	s_load_dwordx8 s[8:15], s[0:1], 0x10
	v_max_i32_e32 v12, 1, v0
	v_lshlrev_b32_e32 v24, 3, v12
	s_waitcnt lgkmcnt(0)
	v_mul_lo_u32 v1, s4, v0
	v_add_u32_e32 v1, s2, v1
	s_mul_i32 s6, s5, s3
	s_add_i32 s2, s5, s2
	s_add_i32 s2, s2, s6
	s_sub_i32 s2, s2, s4
	v_add_u32_e32 v2, s6, v1
	v_mov_b32_e32 v3, s2
	v_cmp_gt_i32_e64 s[4:5], s5, v1
	v_add_u32_e32 v26, -8, v24
	v_add_u32_e32 v12, 0x1f8, v24
	v_cndmask_b32_e64 v2, v3, v2, s[4:5]
	v_mov_b32_e32 v3, 0
	v_lshlrev_b64 v[2:3], 3, v[2:3]
	v_lshl_add_u64 v[4:5], s[8:9], 0, v[2:3]
	v_lshl_add_u64 v[6:7], s[10:11], 0, v[2:3]
	global_load_dwordx2 v[4:5], v[4:5], off
	v_lshl_add_u64 v[8:9], s[12:13], 0, v[2:3]
	global_load_dwordx2 v[6:7], v[6:7], off
	;; [unrolled: 2-line block ×3, first 2 shown]
	s_movk_i32 s2, 0x100
	global_load_dwordx2 v[10:11], v[2:3], off
	v_min_u32_e32 v3, 0x1fe, v0
	v_lshlrev_b32_e32 v2, 3, v0
	v_lshlrev_b32_e32 v3, 3, v3
	v_add_u32_e32 v3, 8, v3
	s_waitcnt vmcnt(2)
	ds_write2st64_b64 v2, v[4:5], v[6:7] offset1:8
	s_waitcnt vmcnt(0)
	ds_write2st64_b64 v2, v[8:9], v[10:11] offset0:16 offset1:32
	s_waitcnt lgkmcnt(0)
	s_barrier
	ds_read2st64_b64 v[4:7], v2 offset1:8
	ds_read2st64_b64 v[8:11], v12 offset0:7 offset1:15
	ds_read2st64_b64 v[12:15], v2 offset0:16 offset1:32
	ds_read2st64_b64 v[16:19], v3 offset1:8
	ds_read2st64_b64 v[20:23], v3 offset0:16 offset1:32
	ds_read_b64 v[24:25], v24 offset:16376
	ds_read_b64 v[26:27], v26
	s_waitcnt lgkmcnt(5)
	v_mul_f32_e32 v3, v9, v9
	s_waitcnt lgkmcnt(3)
	v_mul_f32_e32 v42, v19, v19
	v_mul_f32_e32 v43, v19, v13
	v_fmac_f32_e32 v3, v8, v8
	v_mul_f32_e32 v40, v9, v5
	v_mul_f32_e64 v41, v9, -v4
	v_mul_f32_e64 v19, v19, -v12
	s_waitcnt lgkmcnt(0)
	v_pk_add_f32 v[36:37], v[26:27], 0 neg_lo:[1,1] neg_hi:[1,1]
	v_fmac_f32_e32 v42, v18, v18
	v_fmac_f32_e32 v43, v12, v18
	v_div_scale_f32 v12, s[6:7], v3, v3, 1.0
	v_fmac_f32_e32 v40, v4, v8
	v_fmac_f32_e32 v41, v5, v8
	;; [unrolled: 1-line block ×3, first 2 shown]
	v_pk_mov_b32 v[4:5], v[26:27], v[36:37] op_sel:[1,0]
	v_div_scale_f32 v18, s[6:7], v42, v42, 1.0
	v_rcp_f32_e32 v36, v12
	v_rcp_f32_e32 v37, v18
	v_pk_add_f32 v[38:39], v[20:21], 0 neg_lo:[1,1] neg_hi:[1,1]
	v_div_scale_f32 v13, vcc, 1.0, v3, 1.0
	v_pk_mov_b32 v[8:9], v[20:21], v[38:39] op_sel:[1,0]
	v_fma_f32 v39, -v12, v36, 1.0
	v_fma_f32 v44, -v18, v37, 1.0
	v_fmac_f32_e32 v36, v39, v36
	v_div_scale_f32 v38, s[6:7], 1.0, v42, 1.0
	v_fmac_f32_e32 v37, v44, v37
	v_mul_f32_e32 v39, v13, v36
	v_mul_f32_e32 v44, v38, v37
	v_fma_f32 v45, -v12, v39, v13
	v_fma_f32 v46, -v18, v44, v38
	v_fmac_f32_e32 v39, v45, v36
	v_fmac_f32_e32 v44, v46, v37
	v_fma_f32 v12, -v12, v39, v13
	v_fma_f32 v13, -v18, v44, v38
	v_div_fmas_f32 v12, v12, v36, v39
	s_mov_b64 vcc, s[6:7]
	v_div_fixup_f32 v3, v12, v3, 1.0
	v_div_fmas_f32 v13, v13, v37, v44
	v_xor_b32_e32 v28, 0x80000000, v11
	v_mov_b32_e32 v29, v10
	v_mul_f32_e32 v12, v3, v40
	v_mul_f32_e32 v18, v41, v3
	v_div_fixup_f32 v3, v13, v42, 1.0
	v_xor_b32_e32 v30, 0x80000000, v17
	v_mov_b32_e32 v31, v16
	v_xor_b32_e32 v32, 0x80000000, v25
	v_mov_b32_e32 v33, v24
	v_mul_f32_e32 v38, v19, v3
	v_pk_mul_f32 v[28:29], v[18:19], v[28:29] op_sel_hi:[0,1]
	v_xor_b32_e32 v34, 0x80000000, v23
	v_mov_b32_e32 v35, v22
	v_mul_f32_e32 v36, v3, v43
	v_pk_mul_f32 v[32:33], v[18:19], v[32:33] op_sel_hi:[0,1]
	v_pk_mul_f32 v[4:5], v[18:19], v[4:5] op_sel_hi:[0,1]
	v_pk_fma_f32 v[10:11], v[10:11], v[12:13], v[28:29] op_sel_hi:[1,0,1]
	v_pk_mul_f32 v[18:19], v[38:39], v[30:31] op_sel_hi:[0,1]
	v_pk_fma_f32 v[24:25], v[24:25], v[12:13], v[32:33] op_sel_hi:[1,0,1]
	v_pk_mul_f32 v[28:29], v[38:39], v[34:35] op_sel_hi:[0,1]
	v_pk_add_f32 v[6:7], v[6:7], v[10:11] neg_lo:[0,1] neg_hi:[0,1]
	v_pk_fma_f32 v[10:11], v[16:17], v[36:37], v[18:19] op_sel_hi:[1,0,1]
	v_max_i32_e32 v3, 2, v0
	v_pk_fma_f32 v[4:5], v[26:27], v[12:13], v[4:5] op_sel_hi:[1,0,1] neg_lo:[1,0,0] neg_hi:[1,0,0]
	v_pk_mul_f32 v[8:9], v[38:39], v[8:9] op_sel_hi:[0,1]
	v_pk_add_f32 v[12:13], v[14:15], v[24:25] neg_lo:[0,1] neg_hi:[0,1]
	v_pk_fma_f32 v[14:15], v[22:23], v[36:37], v[28:29] op_sel_hi:[1,0,1]
	v_pk_add_f32 v[6:7], v[6:7], v[10:11] neg_lo:[0,1] neg_hi:[0,1]
	v_lshlrev_b32_e32 v3, 3, v3
	v_pk_add_f32 v[10:11], v[12:13], v[14:15] neg_lo:[0,1] neg_hi:[0,1]
	v_pk_fma_f32 v[8:9], v[20:21], v[36:37], v[8:9] op_sel_hi:[1,0,1] neg_lo:[1,0,0] neg_hi:[1,0,0]
	s_barrier
	ds_write2st64_b64 v2, v[4:5], v[6:7] offset1:8
	ds_write2st64_b64 v2, v[8:9], v[10:11] offset0:16 offset1:32
	v_add_u32_e32 v4, 0x1f0, v3
	s_waitcnt lgkmcnt(0)
	s_barrier
	ds_read2st64_b64 v[4:7], v4 offset0:7 offset1:15
	v_min_u32_e32 v15, 0x1fd, v0
	ds_read2st64_b64 v[8:11], v2 offset1:8
	v_add_u32_e32 v21, -16, v3
	s_waitcnt lgkmcnt(1)
	v_mul_f32_e32 v12, v5, v5
	v_fmac_f32_e32 v12, v4, v4
	v_div_scale_f32 v13, s[6:7], v12, v12, 1.0
	v_rcp_f32_e32 v14, v13
	v_xor_b32_e32 v26, 0x80000000, v7
	v_mov_b32_e32 v27, v6
	v_fma_f32 v16, -v13, v14, 1.0
	v_fmac_f32_e32 v14, v16, v14
	v_div_scale_f32 v16, vcc, 1.0, v12, 1.0
	v_mul_f32_e32 v17, v16, v14
	v_fma_f32 v18, -v13, v17, v16
	v_fmac_f32_e32 v17, v18, v14
	v_fma_f32 v13, -v13, v17, v16
	v_div_fmas_f32 v13, v13, v14, v17
	v_div_fixup_f32 v16, v13, v12, 1.0
	v_lshlrev_b32_e32 v12, 3, v15
	v_add_u32_e32 v23, 16, v12
	ds_read2st64_b64 v[12:15], v23 offset1:8
	s_waitcnt lgkmcnt(1)
	v_mul_f32_e32 v17, v5, v9
	v_fmac_f32_e32 v17, v8, v4
	v_mul_f32_e64 v5, v5, -v8
	v_fmac_f32_e32 v5, v9, v4
	s_waitcnt lgkmcnt(0)
	v_mul_f32_e32 v8, v15, v15
	v_fmac_f32_e32 v8, v14, v14
	v_div_scale_f32 v22, s[6:7], v8, v8, 1.0
	v_rcp_f32_e32 v24, v22
	v_mul_f32_e32 v4, v5, v16
	v_mul_f32_e32 v20, v16, v17
	ds_read2st64_b64 v[16:19], v2 offset0:16 offset1:32
	v_fma_f32 v5, -v22, v24, 1.0
	v_fmac_f32_e32 v24, v5, v24
	v_div_scale_f32 v5, vcc, 1.0, v8, 1.0
	v_mul_f32_e32 v9, v5, v24
	v_fma_f32 v25, -v22, v9, v5
	v_fmac_f32_e32 v9, v25, v24
	v_fma_f32 v5, -v22, v9, v5
	v_div_fmas_f32 v5, v5, v24, v9
	v_div_fixup_f32 v5, v5, v8, 1.0
	s_waitcnt lgkmcnt(0)
	v_mul_f32_e32 v8, v15, v17
	v_mul_f32_e64 v9, v15, -v16
	v_fmac_f32_e32 v8, v16, v14
	v_fmac_f32_e32 v9, v17, v14
	ds_read_b64 v[24:25], v3 offset:16368
	ds_read2st64_b64 v[14:17], v23 offset0:16 offset1:32
	v_pk_mul_f32 v[26:27], v[4:5], v[26:27] op_sel_hi:[0,1]
	v_pk_fma_f32 v[6:7], v[6:7], v[20:21], v[26:27] op_sel_hi:[1,0,1]
	v_mul_f32_e32 v22, v9, v5
	v_pk_add_f32 v[6:7], v[10:11], v[6:7] neg_lo:[0,1] neg_hi:[0,1]
	v_xor_b32_e32 v10, 0x80000000, v13
	v_mov_b32_e32 v11, v12
	v_mul_f32_e32 v8, v5, v8
	v_pk_mul_f32 v[10:11], v[22:23], v[10:11] op_sel_hi:[0,1]
	v_pk_fma_f32 v[10:11], v[12:13], v[8:9], v[10:11] op_sel_hi:[1,0,1]
	s_waitcnt lgkmcnt(1)
	v_xor_b32_e32 v12, 0x80000000, v25
	v_mov_b32_e32 v13, v24
	v_pk_add_f32 v[6:7], v[6:7], v[10:11] neg_lo:[0,1] neg_hi:[0,1]
	ds_read_b64 v[10:11], v21
	v_pk_mul_f32 v[12:13], v[4:5], v[12:13] op_sel_hi:[0,1]
	v_pk_fma_f32 v[12:13], v[24:25], v[20:21], v[12:13] op_sel_hi:[1,0,1]
	v_max_i32_e32 v3, 4, v0
	v_pk_add_f32 v[12:13], v[18:19], v[12:13] neg_lo:[0,1] neg_hi:[0,1]
	s_waitcnt lgkmcnt(1)
	v_xor_b32_e32 v18, 0x80000000, v17
	v_mov_b32_e32 v19, v16
	v_pk_mul_f32 v[18:19], v[22:23], v[18:19] op_sel_hi:[0,1]
	v_pk_fma_f32 v[16:17], v[16:17], v[8:9], v[18:19] op_sel_hi:[1,0,1]
	v_lshlrev_b32_e32 v3, 3, v3
	v_pk_add_f32 v[12:13], v[12:13], v[16:17] neg_lo:[0,1] neg_hi:[0,1]
	s_waitcnt lgkmcnt(0)
	v_pk_add_f32 v[16:17], v[10:11], 0 neg_lo:[1,1] neg_hi:[1,1]
	s_nop 0
	v_pk_mov_b32 v[16:17], v[10:11], v[16:17] op_sel:[1,0]
	s_barrier
	v_pk_mul_f32 v[4:5], v[4:5], v[16:17] op_sel_hi:[0,1]
	v_pk_fma_f32 v[4:5], v[10:11], v[20:21], v[4:5] op_sel_hi:[1,0,1] neg_lo:[1,0,0] neg_hi:[1,0,0]
	v_pk_add_f32 v[10:11], v[14:15], 0 neg_lo:[1,1] neg_hi:[1,1]
	s_nop 0
	v_pk_mov_b32 v[10:11], v[14:15], v[10:11] op_sel:[1,0]
	v_subrev_u32_e32 v21, 32, v3
	v_pk_mul_f32 v[10:11], v[22:23], v[10:11] op_sel_hi:[0,1]
	v_pk_fma_f32 v[8:9], v[14:15], v[8:9], v[10:11] op_sel_hi:[1,0,1] neg_lo:[1,0,0] neg_hi:[1,0,0]
	ds_write2st64_b64 v2, v[4:5], v[6:7] offset1:8
	ds_write2st64_b64 v2, v[8:9], v[12:13] offset0:16 offset1:32
	v_add_u32_e32 v4, 0x1e0, v3
	s_waitcnt lgkmcnt(0)
	s_barrier
	ds_read2st64_b64 v[4:7], v4 offset0:7 offset1:15
	v_min_u32_e32 v15, 0x1fb, v0
	ds_read2st64_b64 v[8:11], v2 offset1:8
	s_waitcnt lgkmcnt(1)
	v_mul_f32_e32 v12, v5, v5
	v_fmac_f32_e32 v12, v4, v4
	v_div_scale_f32 v13, s[6:7], v12, v12, 1.0
	v_rcp_f32_e32 v14, v13
	v_xor_b32_e32 v26, 0x80000000, v7
	v_mov_b32_e32 v27, v6
	v_fma_f32 v16, -v13, v14, 1.0
	v_fmac_f32_e32 v14, v16, v14
	v_div_scale_f32 v16, vcc, 1.0, v12, 1.0
	v_mul_f32_e32 v17, v16, v14
	v_fma_f32 v18, -v13, v17, v16
	v_fmac_f32_e32 v17, v18, v14
	v_fma_f32 v13, -v13, v17, v16
	v_div_fmas_f32 v13, v13, v14, v17
	v_div_fixup_f32 v16, v13, v12, 1.0
	v_lshlrev_b32_e32 v12, 3, v15
	v_add_u32_e32 v23, 32, v12
	ds_read2st64_b64 v[12:15], v23 offset1:8
	s_waitcnt lgkmcnt(1)
	v_mul_f32_e32 v17, v5, v9
	v_fmac_f32_e32 v17, v8, v4
	v_mul_f32_e64 v5, v5, -v8
	v_fmac_f32_e32 v5, v9, v4
	s_waitcnt lgkmcnt(0)
	v_mul_f32_e32 v8, v15, v15
	v_fmac_f32_e32 v8, v14, v14
	v_div_scale_f32 v22, s[6:7], v8, v8, 1.0
	v_rcp_f32_e32 v24, v22
	v_mul_f32_e32 v4, v5, v16
	v_mul_f32_e32 v20, v16, v17
	ds_read2st64_b64 v[16:19], v2 offset0:16 offset1:32
	v_fma_f32 v5, -v22, v24, 1.0
	v_fmac_f32_e32 v24, v5, v24
	v_div_scale_f32 v5, vcc, 1.0, v8, 1.0
	v_mul_f32_e32 v9, v5, v24
	v_fma_f32 v25, -v22, v9, v5
	v_fmac_f32_e32 v9, v25, v24
	v_fma_f32 v5, -v22, v9, v5
	v_div_fmas_f32 v5, v5, v24, v9
	v_div_fixup_f32 v5, v5, v8, 1.0
	s_waitcnt lgkmcnt(0)
	v_mul_f32_e32 v8, v15, v17
	v_mul_f32_e64 v9, v15, -v16
	v_fmac_f32_e32 v8, v16, v14
	v_fmac_f32_e32 v9, v17, v14
	ds_read_b64 v[24:25], v3 offset:16352
	ds_read2st64_b64 v[14:17], v23 offset0:16 offset1:32
	v_pk_mul_f32 v[26:27], v[4:5], v[26:27] op_sel_hi:[0,1]
	v_pk_fma_f32 v[6:7], v[6:7], v[20:21], v[26:27] op_sel_hi:[1,0,1]
	v_mul_f32_e32 v22, v9, v5
	v_pk_add_f32 v[6:7], v[10:11], v[6:7] neg_lo:[0,1] neg_hi:[0,1]
	v_xor_b32_e32 v10, 0x80000000, v13
	v_mov_b32_e32 v11, v12
	v_mul_f32_e32 v8, v5, v8
	v_pk_mul_f32 v[10:11], v[22:23], v[10:11] op_sel_hi:[0,1]
	v_pk_fma_f32 v[10:11], v[12:13], v[8:9], v[10:11] op_sel_hi:[1,0,1]
	s_waitcnt lgkmcnt(1)
	v_xor_b32_e32 v12, 0x80000000, v25
	v_mov_b32_e32 v13, v24
	v_pk_add_f32 v[6:7], v[6:7], v[10:11] neg_lo:[0,1] neg_hi:[0,1]
	ds_read_b64 v[10:11], v21
	v_pk_mul_f32 v[12:13], v[4:5], v[12:13] op_sel_hi:[0,1]
	v_pk_fma_f32 v[12:13], v[24:25], v[20:21], v[12:13] op_sel_hi:[1,0,1]
	v_max_i32_e32 v3, 8, v0
	v_pk_add_f32 v[12:13], v[18:19], v[12:13] neg_lo:[0,1] neg_hi:[0,1]
	s_waitcnt lgkmcnt(1)
	v_xor_b32_e32 v18, 0x80000000, v17
	v_mov_b32_e32 v19, v16
	v_pk_mul_f32 v[18:19], v[22:23], v[18:19] op_sel_hi:[0,1]
	v_pk_fma_f32 v[16:17], v[16:17], v[8:9], v[18:19] op_sel_hi:[1,0,1]
	v_lshlrev_b32_e32 v3, 3, v3
	v_pk_add_f32 v[12:13], v[12:13], v[16:17] neg_lo:[0,1] neg_hi:[0,1]
	s_waitcnt lgkmcnt(0)
	v_pk_add_f32 v[16:17], v[10:11], 0 neg_lo:[1,1] neg_hi:[1,1]
	s_nop 0
	v_pk_mov_b32 v[16:17], v[10:11], v[16:17] op_sel:[1,0]
	s_barrier
	v_pk_mul_f32 v[4:5], v[4:5], v[16:17] op_sel_hi:[0,1]
	v_pk_fma_f32 v[4:5], v[10:11], v[20:21], v[4:5] op_sel_hi:[1,0,1] neg_lo:[1,0,0] neg_hi:[1,0,0]
	v_pk_add_f32 v[10:11], v[14:15], 0 neg_lo:[1,1] neg_hi:[1,1]
	s_nop 0
	v_pk_mov_b32 v[10:11], v[14:15], v[10:11] op_sel:[1,0]
	v_subrev_u32_e32 v21, 64, v3
	v_pk_mul_f32 v[10:11], v[22:23], v[10:11] op_sel_hi:[0,1]
	v_pk_fma_f32 v[8:9], v[14:15], v[8:9], v[10:11] op_sel_hi:[1,0,1] neg_lo:[1,0,0] neg_hi:[1,0,0]
	ds_write2st64_b64 v2, v[4:5], v[6:7] offset1:8
	ds_write2st64_b64 v2, v[8:9], v[12:13] offset0:16 offset1:32
	v_add_u32_e32 v4, 0x1c0, v3
	s_waitcnt lgkmcnt(0)
	s_barrier
	ds_read2st64_b64 v[4:7], v4 offset0:7 offset1:15
	v_min_u32_e32 v15, 0x1f7, v0
	ds_read2st64_b64 v[8:11], v2 offset1:8
	s_waitcnt lgkmcnt(1)
	v_mul_f32_e32 v12, v5, v5
	v_fmac_f32_e32 v12, v4, v4
	v_div_scale_f32 v13, s[6:7], v12, v12, 1.0
	v_rcp_f32_e32 v14, v13
	v_xor_b32_e32 v26, 0x80000000, v7
	v_mov_b32_e32 v27, v6
	v_fma_f32 v16, -v13, v14, 1.0
	v_fmac_f32_e32 v14, v16, v14
	v_div_scale_f32 v16, vcc, 1.0, v12, 1.0
	v_mul_f32_e32 v17, v16, v14
	v_fma_f32 v18, -v13, v17, v16
	v_fmac_f32_e32 v17, v18, v14
	v_fma_f32 v13, -v13, v17, v16
	v_div_fmas_f32 v13, v13, v14, v17
	v_div_fixup_f32 v16, v13, v12, 1.0
	v_lshlrev_b32_e32 v12, 3, v15
	v_add_u32_e32 v23, 64, v12
	ds_read2st64_b64 v[12:15], v23 offset1:8
	s_waitcnt lgkmcnt(1)
	v_mul_f32_e32 v17, v5, v9
	v_fmac_f32_e32 v17, v8, v4
	v_mul_f32_e64 v5, v5, -v8
	v_fmac_f32_e32 v5, v9, v4
	s_waitcnt lgkmcnt(0)
	v_mul_f32_e32 v8, v15, v15
	v_fmac_f32_e32 v8, v14, v14
	v_div_scale_f32 v22, s[6:7], v8, v8, 1.0
	v_rcp_f32_e32 v24, v22
	v_mul_f32_e32 v4, v5, v16
	v_mul_f32_e32 v20, v16, v17
	ds_read2st64_b64 v[16:19], v2 offset0:16 offset1:32
	v_fma_f32 v5, -v22, v24, 1.0
	v_fmac_f32_e32 v24, v5, v24
	v_div_scale_f32 v5, vcc, 1.0, v8, 1.0
	v_mul_f32_e32 v9, v5, v24
	v_fma_f32 v25, -v22, v9, v5
	v_fmac_f32_e32 v9, v25, v24
	v_fma_f32 v5, -v22, v9, v5
	v_div_fmas_f32 v5, v5, v24, v9
	v_div_fixup_f32 v5, v5, v8, 1.0
	s_waitcnt lgkmcnt(0)
	v_mul_f32_e32 v8, v15, v17
	v_mul_f32_e64 v9, v15, -v16
	v_fmac_f32_e32 v8, v16, v14
	v_fmac_f32_e32 v9, v17, v14
	ds_read_b64 v[24:25], v3 offset:16320
	ds_read2st64_b64 v[14:17], v23 offset0:16 offset1:32
	v_pk_mul_f32 v[26:27], v[4:5], v[26:27] op_sel_hi:[0,1]
	v_pk_fma_f32 v[6:7], v[6:7], v[20:21], v[26:27] op_sel_hi:[1,0,1]
	v_mul_f32_e32 v22, v9, v5
	v_pk_add_f32 v[6:7], v[10:11], v[6:7] neg_lo:[0,1] neg_hi:[0,1]
	v_xor_b32_e32 v10, 0x80000000, v13
	v_mov_b32_e32 v11, v12
	v_mul_f32_e32 v8, v5, v8
	v_pk_mul_f32 v[10:11], v[22:23], v[10:11] op_sel_hi:[0,1]
	v_pk_fma_f32 v[10:11], v[12:13], v[8:9], v[10:11] op_sel_hi:[1,0,1]
	s_waitcnt lgkmcnt(1)
	v_xor_b32_e32 v12, 0x80000000, v25
	v_mov_b32_e32 v13, v24
	v_pk_add_f32 v[6:7], v[6:7], v[10:11] neg_lo:[0,1] neg_hi:[0,1]
	ds_read_b64 v[10:11], v21
	v_pk_mul_f32 v[12:13], v[4:5], v[12:13] op_sel_hi:[0,1]
	v_pk_fma_f32 v[12:13], v[24:25], v[20:21], v[12:13] op_sel_hi:[1,0,1]
	v_max_i32_e32 v3, 16, v0
	v_pk_add_f32 v[12:13], v[18:19], v[12:13] neg_lo:[0,1] neg_hi:[0,1]
	s_waitcnt lgkmcnt(1)
	v_xor_b32_e32 v18, 0x80000000, v17
	v_mov_b32_e32 v19, v16
	v_pk_mul_f32 v[18:19], v[22:23], v[18:19] op_sel_hi:[0,1]
	v_pk_fma_f32 v[16:17], v[16:17], v[8:9], v[18:19] op_sel_hi:[1,0,1]
	v_lshlrev_b32_e32 v3, 3, v3
	v_pk_add_f32 v[12:13], v[12:13], v[16:17] neg_lo:[0,1] neg_hi:[0,1]
	s_waitcnt lgkmcnt(0)
	v_pk_add_f32 v[16:17], v[10:11], 0 neg_lo:[1,1] neg_hi:[1,1]
	s_nop 0
	v_pk_mov_b32 v[16:17], v[10:11], v[16:17] op_sel:[1,0]
	s_barrier
	v_pk_mul_f32 v[4:5], v[4:5], v[16:17] op_sel_hi:[0,1]
	v_pk_fma_f32 v[4:5], v[10:11], v[20:21], v[4:5] op_sel_hi:[1,0,1] neg_lo:[1,0,0] neg_hi:[1,0,0]
	v_pk_add_f32 v[10:11], v[14:15], 0 neg_lo:[1,1] neg_hi:[1,1]
	s_nop 0
	v_pk_mov_b32 v[10:11], v[14:15], v[10:11] op_sel:[1,0]
	v_add_u32_e32 v21, 0xffffff80, v3
	v_pk_mul_f32 v[10:11], v[22:23], v[10:11] op_sel_hi:[0,1]
	v_pk_fma_f32 v[8:9], v[14:15], v[8:9], v[10:11] op_sel_hi:[1,0,1] neg_lo:[1,0,0] neg_hi:[1,0,0]
	ds_write2st64_b64 v2, v[4:5], v[6:7] offset1:8
	ds_write2st64_b64 v2, v[8:9], v[12:13] offset0:16 offset1:32
	v_add_u32_e32 v4, 0x180, v3
	s_waitcnt lgkmcnt(0)
	s_barrier
	ds_read2st64_b64 v[4:7], v4 offset0:7 offset1:15
	v_min_u32_e32 v15, 0x1ef, v0
	ds_read2st64_b64 v[8:11], v2 offset1:8
	s_waitcnt lgkmcnt(1)
	v_mul_f32_e32 v12, v5, v5
	v_fmac_f32_e32 v12, v4, v4
	v_div_scale_f32 v13, s[6:7], v12, v12, 1.0
	v_rcp_f32_e32 v14, v13
	v_xor_b32_e32 v26, 0x80000000, v7
	v_mov_b32_e32 v27, v6
	v_fma_f32 v16, -v13, v14, 1.0
	v_fmac_f32_e32 v14, v16, v14
	v_div_scale_f32 v16, vcc, 1.0, v12, 1.0
	v_mul_f32_e32 v17, v16, v14
	v_fma_f32 v18, -v13, v17, v16
	v_fmac_f32_e32 v17, v18, v14
	v_fma_f32 v13, -v13, v17, v16
	v_div_fmas_f32 v13, v13, v14, v17
	v_div_fixup_f32 v16, v13, v12, 1.0
	v_lshlrev_b32_e32 v12, 3, v15
	v_add_u32_e32 v23, 0x80, v12
	ds_read2st64_b64 v[12:15], v23 offset1:8
	s_waitcnt lgkmcnt(1)
	v_mul_f32_e32 v17, v5, v9
	v_fmac_f32_e32 v17, v8, v4
	v_mul_f32_e64 v5, v5, -v8
	v_fmac_f32_e32 v5, v9, v4
	s_waitcnt lgkmcnt(0)
	v_mul_f32_e32 v8, v15, v15
	v_fmac_f32_e32 v8, v14, v14
	v_div_scale_f32 v22, s[6:7], v8, v8, 1.0
	v_rcp_f32_e32 v24, v22
	v_mul_f32_e32 v4, v5, v16
	v_mul_f32_e32 v20, v16, v17
	ds_read2st64_b64 v[16:19], v2 offset0:16 offset1:32
	v_fma_f32 v5, -v22, v24, 1.0
	v_fmac_f32_e32 v24, v5, v24
	v_div_scale_f32 v5, vcc, 1.0, v8, 1.0
	v_mul_f32_e32 v9, v5, v24
	v_fma_f32 v25, -v22, v9, v5
	v_fmac_f32_e32 v9, v25, v24
	v_fma_f32 v5, -v22, v9, v5
	v_div_fmas_f32 v5, v5, v24, v9
	v_div_fixup_f32 v5, v5, v8, 1.0
	s_waitcnt lgkmcnt(0)
	v_mul_f32_e32 v8, v15, v17
	v_mul_f32_e64 v9, v15, -v16
	v_fmac_f32_e32 v8, v16, v14
	v_fmac_f32_e32 v9, v17, v14
	ds_read_b64 v[24:25], v3 offset:16256
	ds_read2st64_b64 v[14:17], v23 offset0:16 offset1:32
	v_pk_mul_f32 v[26:27], v[4:5], v[26:27] op_sel_hi:[0,1]
	v_pk_fma_f32 v[6:7], v[6:7], v[20:21], v[26:27] op_sel_hi:[1,0,1]
	v_mul_f32_e32 v22, v9, v5
	v_pk_add_f32 v[6:7], v[10:11], v[6:7] neg_lo:[0,1] neg_hi:[0,1]
	v_xor_b32_e32 v10, 0x80000000, v13
	v_mov_b32_e32 v11, v12
	v_mul_f32_e32 v8, v5, v8
	v_pk_mul_f32 v[10:11], v[22:23], v[10:11] op_sel_hi:[0,1]
	v_pk_fma_f32 v[10:11], v[12:13], v[8:9], v[10:11] op_sel_hi:[1,0,1]
	s_waitcnt lgkmcnt(1)
	v_xor_b32_e32 v12, 0x80000000, v25
	v_mov_b32_e32 v13, v24
	v_pk_add_f32 v[6:7], v[6:7], v[10:11] neg_lo:[0,1] neg_hi:[0,1]
	ds_read_b64 v[10:11], v21
	v_pk_mul_f32 v[12:13], v[4:5], v[12:13] op_sel_hi:[0,1]
	v_pk_fma_f32 v[12:13], v[24:25], v[20:21], v[12:13] op_sel_hi:[1,0,1]
	v_max_i32_e32 v3, 32, v0
	v_pk_add_f32 v[12:13], v[18:19], v[12:13] neg_lo:[0,1] neg_hi:[0,1]
	s_waitcnt lgkmcnt(1)
	v_xor_b32_e32 v18, 0x80000000, v17
	v_mov_b32_e32 v19, v16
	v_pk_mul_f32 v[18:19], v[22:23], v[18:19] op_sel_hi:[0,1]
	v_pk_fma_f32 v[16:17], v[16:17], v[8:9], v[18:19] op_sel_hi:[1,0,1]
	v_lshlrev_b32_e32 v3, 3, v3
	v_pk_add_f32 v[12:13], v[12:13], v[16:17] neg_lo:[0,1] neg_hi:[0,1]
	s_waitcnt lgkmcnt(0)
	v_pk_add_f32 v[16:17], v[10:11], 0 neg_lo:[1,1] neg_hi:[1,1]
	s_nop 0
	v_pk_mov_b32 v[16:17], v[10:11], v[16:17] op_sel:[1,0]
	s_barrier
	v_pk_mul_f32 v[4:5], v[4:5], v[16:17] op_sel_hi:[0,1]
	v_pk_fma_f32 v[4:5], v[10:11], v[20:21], v[4:5] op_sel_hi:[1,0,1] neg_lo:[1,0,0] neg_hi:[1,0,0]
	v_pk_add_f32 v[10:11], v[14:15], 0 neg_lo:[1,1] neg_hi:[1,1]
	s_nop 0
	v_pk_mov_b32 v[10:11], v[14:15], v[10:11] op_sel:[1,0]
	v_add_u32_e32 v21, 0xffffff00, v3
	v_pk_mul_f32 v[10:11], v[22:23], v[10:11] op_sel_hi:[0,1]
	v_pk_fma_f32 v[8:9], v[14:15], v[8:9], v[10:11] op_sel_hi:[1,0,1] neg_lo:[1,0,0] neg_hi:[1,0,0]
	ds_write2st64_b64 v2, v[4:5], v[6:7] offset1:8
	ds_write2st64_b64 v2, v[8:9], v[12:13] offset0:16 offset1:32
	v_add_u32_e32 v4, 0x100, v3
	s_waitcnt lgkmcnt(0)
	s_barrier
	ds_read2st64_b64 v[4:7], v4 offset0:7 offset1:15
	v_min_u32_e32 v15, 0x1df, v0
	ds_read2st64_b64 v[8:11], v2 offset1:8
	s_waitcnt lgkmcnt(1)
	v_mul_f32_e32 v12, v5, v5
	v_fmac_f32_e32 v12, v4, v4
	v_div_scale_f32 v13, s[6:7], v12, v12, 1.0
	v_rcp_f32_e32 v14, v13
	v_xor_b32_e32 v26, 0x80000000, v7
	v_mov_b32_e32 v27, v6
	v_fma_f32 v16, -v13, v14, 1.0
	v_fmac_f32_e32 v14, v16, v14
	v_div_scale_f32 v16, vcc, 1.0, v12, 1.0
	v_mul_f32_e32 v17, v16, v14
	v_fma_f32 v18, -v13, v17, v16
	v_fmac_f32_e32 v17, v18, v14
	v_fma_f32 v13, -v13, v17, v16
	v_div_fmas_f32 v13, v13, v14, v17
	v_div_fixup_f32 v16, v13, v12, 1.0
	v_lshlrev_b32_e32 v12, 3, v15
	v_add_u32_e32 v23, 0x100, v12
	ds_read2st64_b64 v[12:15], v23 offset1:8
	s_waitcnt lgkmcnt(1)
	v_mul_f32_e32 v17, v5, v9
	v_fmac_f32_e32 v17, v8, v4
	v_mul_f32_e64 v5, v5, -v8
	v_fmac_f32_e32 v5, v9, v4
	s_waitcnt lgkmcnt(0)
	v_mul_f32_e32 v8, v15, v15
	v_fmac_f32_e32 v8, v14, v14
	v_div_scale_f32 v22, s[6:7], v8, v8, 1.0
	v_rcp_f32_e32 v24, v22
	v_mul_f32_e32 v4, v5, v16
	v_mul_f32_e32 v20, v16, v17
	ds_read2st64_b64 v[16:19], v2 offset0:16 offset1:32
	v_fma_f32 v5, -v22, v24, 1.0
	v_fmac_f32_e32 v24, v5, v24
	v_div_scale_f32 v5, vcc, 1.0, v8, 1.0
	v_mul_f32_e32 v9, v5, v24
	v_fma_f32 v25, -v22, v9, v5
	v_fmac_f32_e32 v9, v25, v24
	v_fma_f32 v5, -v22, v9, v5
	v_div_fmas_f32 v5, v5, v24, v9
	v_div_fixup_f32 v5, v5, v8, 1.0
	s_waitcnt lgkmcnt(0)
	v_mul_f32_e32 v8, v15, v17
	v_mul_f32_e64 v9, v15, -v16
	v_fmac_f32_e32 v8, v16, v14
	v_fmac_f32_e32 v9, v17, v14
	ds_read_b64 v[24:25], v3 offset:16128
	ds_read2st64_b64 v[14:17], v23 offset0:16 offset1:32
	v_pk_mul_f32 v[26:27], v[4:5], v[26:27] op_sel_hi:[0,1]
	v_pk_fma_f32 v[6:7], v[6:7], v[20:21], v[26:27] op_sel_hi:[1,0,1]
	v_mul_f32_e32 v22, v9, v5
	v_pk_add_f32 v[6:7], v[10:11], v[6:7] neg_lo:[0,1] neg_hi:[0,1]
	v_xor_b32_e32 v10, 0x80000000, v13
	v_mov_b32_e32 v11, v12
	v_mul_f32_e32 v8, v5, v8
	v_pk_mul_f32 v[10:11], v[22:23], v[10:11] op_sel_hi:[0,1]
	v_pk_fma_f32 v[10:11], v[12:13], v[8:9], v[10:11] op_sel_hi:[1,0,1]
	s_waitcnt lgkmcnt(1)
	v_xor_b32_e32 v12, 0x80000000, v25
	v_mov_b32_e32 v13, v24
	v_pk_add_f32 v[6:7], v[6:7], v[10:11] neg_lo:[0,1] neg_hi:[0,1]
	ds_read_b64 v[10:11], v21
	v_pk_mul_f32 v[12:13], v[4:5], v[12:13] op_sel_hi:[0,1]
	v_pk_fma_f32 v[12:13], v[24:25], v[20:21], v[12:13] op_sel_hi:[1,0,1]
	v_max_i32_e32 v3, 64, v0
	v_pk_add_f32 v[12:13], v[18:19], v[12:13] neg_lo:[0,1] neg_hi:[0,1]
	s_waitcnt lgkmcnt(1)
	v_xor_b32_e32 v18, 0x80000000, v17
	v_mov_b32_e32 v19, v16
	v_pk_mul_f32 v[18:19], v[22:23], v[18:19] op_sel_hi:[0,1]
	v_pk_fma_f32 v[16:17], v[16:17], v[8:9], v[18:19] op_sel_hi:[1,0,1]
	v_lshlrev_b32_e32 v3, 3, v3
	v_pk_add_f32 v[12:13], v[12:13], v[16:17] neg_lo:[0,1] neg_hi:[0,1]
	s_waitcnt lgkmcnt(0)
	v_pk_add_f32 v[16:17], v[10:11], 0 neg_lo:[1,1] neg_hi:[1,1]
	s_nop 0
	v_pk_mov_b32 v[16:17], v[10:11], v[16:17] op_sel:[1,0]
	s_barrier
	v_pk_mul_f32 v[4:5], v[4:5], v[16:17] op_sel_hi:[0,1]
	v_pk_fma_f32 v[4:5], v[10:11], v[20:21], v[4:5] op_sel_hi:[1,0,1] neg_lo:[1,0,0] neg_hi:[1,0,0]
	v_pk_add_f32 v[10:11], v[14:15], 0 neg_lo:[1,1] neg_hi:[1,1]
	s_nop 0
	v_pk_mov_b32 v[10:11], v[14:15], v[10:11] op_sel:[1,0]
	v_add_u32_e32 v21, 0xfffffe00, v3
	v_pk_mul_f32 v[10:11], v[22:23], v[10:11] op_sel_hi:[0,1]
	v_pk_fma_f32 v[8:9], v[14:15], v[8:9], v[10:11] op_sel_hi:[1,0,1] neg_lo:[1,0,0] neg_hi:[1,0,0]
	ds_write2st64_b64 v2, v[4:5], v[6:7] offset1:8
	ds_write2st64_b64 v2, v[8:9], v[12:13] offset0:16 offset1:32
	s_waitcnt lgkmcnt(0)
	s_barrier
	ds_read2st64_b64 v[4:7], v3 offset0:7 offset1:15
	v_min_u32_e32 v15, 0x1bf, v0
	ds_read2st64_b64 v[8:11], v2 offset1:8
	v_lshlrev_b32_e32 v23, 3, v15
	s_waitcnt lgkmcnt(1)
	v_mul_f32_e32 v12, v5, v5
	v_fmac_f32_e32 v12, v4, v4
	v_div_scale_f32 v13, s[6:7], v12, v12, 1.0
	v_rcp_f32_e32 v14, v13
	v_xor_b32_e32 v26, 0x80000000, v7
	v_mov_b32_e32 v27, v6
	v_fma_f32 v16, -v13, v14, 1.0
	v_fmac_f32_e32 v14, v16, v14
	v_div_scale_f32 v16, vcc, 1.0, v12, 1.0
	v_mul_f32_e32 v17, v16, v14
	v_fma_f32 v18, -v13, v17, v16
	v_fmac_f32_e32 v17, v18, v14
	v_fma_f32 v13, -v13, v17, v16
	v_div_fmas_f32 v13, v13, v14, v17
	v_div_fixup_f32 v16, v13, v12, 1.0
	ds_read2st64_b64 v[12:15], v23 offset0:1 offset1:9
	s_waitcnt lgkmcnt(1)
	v_mul_f32_e32 v17, v5, v9
	v_fmac_f32_e32 v17, v8, v4
	v_mul_f32_e64 v5, v5, -v8
	v_fmac_f32_e32 v5, v9, v4
	s_waitcnt lgkmcnt(0)
	v_mul_f32_e32 v8, v15, v15
	v_fmac_f32_e32 v8, v14, v14
	v_div_scale_f32 v22, s[6:7], v8, v8, 1.0
	v_rcp_f32_e32 v24, v22
	v_mul_f32_e32 v4, v5, v16
	v_mul_f32_e32 v20, v16, v17
	ds_read2st64_b64 v[16:19], v2 offset0:16 offset1:32
	v_fma_f32 v5, -v22, v24, 1.0
	v_fmac_f32_e32 v24, v5, v24
	v_div_scale_f32 v5, vcc, 1.0, v8, 1.0
	v_mul_f32_e32 v9, v5, v24
	v_fma_f32 v25, -v22, v9, v5
	v_fmac_f32_e32 v9, v25, v24
	v_fma_f32 v5, -v22, v9, v5
	v_div_fmas_f32 v5, v5, v24, v9
	v_div_fixup_f32 v5, v5, v8, 1.0
	s_waitcnt lgkmcnt(0)
	v_mul_f32_e32 v8, v15, v17
	v_mul_f32_e64 v9, v15, -v16
	v_fmac_f32_e32 v8, v16, v14
	v_fmac_f32_e32 v9, v17, v14
	ds_read_b64 v[24:25], v3 offset:15872
	ds_read2st64_b64 v[14:17], v23 offset0:17 offset1:33
	v_pk_mul_f32 v[26:27], v[4:5], v[26:27] op_sel_hi:[0,1]
	v_pk_fma_f32 v[6:7], v[6:7], v[20:21], v[26:27] op_sel_hi:[1,0,1]
	v_mul_f32_e32 v22, v9, v5
	v_pk_add_f32 v[6:7], v[10:11], v[6:7] neg_lo:[0,1] neg_hi:[0,1]
	v_xor_b32_e32 v10, 0x80000000, v13
	v_mov_b32_e32 v11, v12
	v_mul_f32_e32 v8, v5, v8
	v_pk_mul_f32 v[10:11], v[22:23], v[10:11] op_sel_hi:[0,1]
	v_pk_fma_f32 v[10:11], v[12:13], v[8:9], v[10:11] op_sel_hi:[1,0,1]
	s_waitcnt lgkmcnt(1)
	v_xor_b32_e32 v12, 0x80000000, v25
	v_mov_b32_e32 v13, v24
	v_pk_add_f32 v[6:7], v[6:7], v[10:11] neg_lo:[0,1] neg_hi:[0,1]
	ds_read_b64 v[10:11], v21
	v_pk_mul_f32 v[12:13], v[4:5], v[12:13] op_sel_hi:[0,1]
	v_pk_fma_f32 v[12:13], v[24:25], v[20:21], v[12:13] op_sel_hi:[1,0,1]
	v_max_i32_e32 v3, 0x80, v0
	v_pk_add_f32 v[12:13], v[18:19], v[12:13] neg_lo:[0,1] neg_hi:[0,1]
	s_waitcnt lgkmcnt(1)
	v_xor_b32_e32 v18, 0x80000000, v17
	v_mov_b32_e32 v19, v16
	v_pk_mul_f32 v[18:19], v[22:23], v[18:19] op_sel_hi:[0,1]
	v_pk_fma_f32 v[16:17], v[16:17], v[8:9], v[18:19] op_sel_hi:[1,0,1]
	v_lshlrev_b32_e32 v3, 3, v3
	v_pk_add_f32 v[12:13], v[12:13], v[16:17] neg_lo:[0,1] neg_hi:[0,1]
	s_waitcnt lgkmcnt(0)
	v_pk_add_f32 v[16:17], v[10:11], 0 neg_lo:[1,1] neg_hi:[1,1]
	s_nop 0
	v_pk_mov_b32 v[16:17], v[10:11], v[16:17] op_sel:[1,0]
	s_barrier
	v_pk_mul_f32 v[4:5], v[4:5], v[16:17] op_sel_hi:[0,1]
	v_pk_fma_f32 v[4:5], v[10:11], v[20:21], v[4:5] op_sel_hi:[1,0,1] neg_lo:[1,0,0] neg_hi:[1,0,0]
	v_pk_add_f32 v[10:11], v[14:15], 0 neg_lo:[1,1] neg_hi:[1,1]
	s_nop 0
	v_pk_mov_b32 v[10:11], v[14:15], v[10:11] op_sel:[1,0]
	v_add_u32_e32 v21, 0xfffffc00, v3
	v_pk_mul_f32 v[10:11], v[22:23], v[10:11] op_sel_hi:[0,1]
	v_pk_fma_f32 v[8:9], v[14:15], v[8:9], v[10:11] op_sel_hi:[1,0,1] neg_lo:[1,0,0] neg_hi:[1,0,0]
	ds_write2st64_b64 v2, v[4:5], v[6:7] offset1:8
	ds_write2st64_b64 v2, v[8:9], v[12:13] offset0:16 offset1:32
	s_waitcnt lgkmcnt(0)
	s_barrier
	ds_read2st64_b64 v[4:7], v3 offset0:6 offset1:14
	v_min_u32_e32 v15, 0x17f, v0
	ds_read2st64_b64 v[8:11], v2 offset1:8
	v_lshlrev_b32_e32 v23, 3, v15
	s_waitcnt lgkmcnt(1)
	v_mul_f32_e32 v12, v5, v5
	v_fmac_f32_e32 v12, v4, v4
	v_div_scale_f32 v13, s[6:7], v12, v12, 1.0
	v_rcp_f32_e32 v14, v13
	v_xor_b32_e32 v26, 0x80000000, v7
	v_mov_b32_e32 v27, v6
	v_fma_f32 v16, -v13, v14, 1.0
	v_fmac_f32_e32 v14, v16, v14
	v_div_scale_f32 v16, vcc, 1.0, v12, 1.0
	v_mul_f32_e32 v17, v16, v14
	v_fma_f32 v18, -v13, v17, v16
	v_fmac_f32_e32 v17, v18, v14
	v_fma_f32 v13, -v13, v17, v16
	v_div_fmas_f32 v13, v13, v14, v17
	v_div_fixup_f32 v16, v13, v12, 1.0
	ds_read2st64_b64 v[12:15], v23 offset0:2 offset1:10
	s_waitcnt lgkmcnt(1)
	v_mul_f32_e32 v17, v5, v9
	v_fmac_f32_e32 v17, v8, v4
	v_mul_f32_e64 v5, v5, -v8
	v_fmac_f32_e32 v5, v9, v4
	s_waitcnt lgkmcnt(0)
	v_mul_f32_e32 v8, v15, v15
	v_fmac_f32_e32 v8, v14, v14
	v_div_scale_f32 v22, s[6:7], v8, v8, 1.0
	v_rcp_f32_e32 v24, v22
	v_mul_f32_e32 v4, v5, v16
	v_mul_f32_e32 v20, v16, v17
	ds_read2st64_b64 v[16:19], v2 offset0:16 offset1:32
	v_fma_f32 v5, -v22, v24, 1.0
	v_fmac_f32_e32 v24, v5, v24
	v_div_scale_f32 v5, vcc, 1.0, v8, 1.0
	v_mul_f32_e32 v9, v5, v24
	v_fma_f32 v25, -v22, v9, v5
	v_fmac_f32_e32 v9, v25, v24
	v_fma_f32 v5, -v22, v9, v5
	v_div_fmas_f32 v5, v5, v24, v9
	v_div_fixup_f32 v5, v5, v8, 1.0
	s_waitcnt lgkmcnt(0)
	v_mul_f32_e32 v8, v15, v17
	v_mul_f32_e64 v9, v15, -v16
	v_fmac_f32_e32 v8, v16, v14
	v_fmac_f32_e32 v9, v17, v14
	ds_read_b64 v[24:25], v3 offset:15360
	ds_read2st64_b64 v[14:17], v23 offset0:18 offset1:34
	v_pk_mul_f32 v[26:27], v[4:5], v[26:27] op_sel_hi:[0,1]
	v_pk_fma_f32 v[6:7], v[6:7], v[20:21], v[26:27] op_sel_hi:[1,0,1]
	v_mul_f32_e32 v22, v9, v5
	v_pk_add_f32 v[6:7], v[10:11], v[6:7] neg_lo:[0,1] neg_hi:[0,1]
	v_xor_b32_e32 v10, 0x80000000, v13
	v_mov_b32_e32 v11, v12
	v_mul_f32_e32 v8, v5, v8
	v_pk_mul_f32 v[10:11], v[22:23], v[10:11] op_sel_hi:[0,1]
	v_pk_fma_f32 v[10:11], v[12:13], v[8:9], v[10:11] op_sel_hi:[1,0,1]
	s_waitcnt lgkmcnt(1)
	v_xor_b32_e32 v12, 0x80000000, v25
	v_mov_b32_e32 v13, v24
	v_pk_add_f32 v[6:7], v[6:7], v[10:11] neg_lo:[0,1] neg_hi:[0,1]
	ds_read_b64 v[10:11], v21
	v_pk_mul_f32 v[12:13], v[4:5], v[12:13] op_sel_hi:[0,1]
	v_pk_fma_f32 v[12:13], v[24:25], v[20:21], v[12:13] op_sel_hi:[1,0,1]
	v_cmp_gt_u32_e32 vcc, s2, v0
	v_pk_add_f32 v[12:13], v[18:19], v[12:13] neg_lo:[0,1] neg_hi:[0,1]
	s_waitcnt lgkmcnt(1)
	v_xor_b32_e32 v18, 0x80000000, v17
	v_mov_b32_e32 v19, v16
	v_pk_mul_f32 v[18:19], v[22:23], v[18:19] op_sel_hi:[0,1]
	v_pk_fma_f32 v[16:17], v[16:17], v[8:9], v[18:19] op_sel_hi:[1,0,1]
	s_waitcnt lgkmcnt(0)
	v_pk_add_f32 v[12:13], v[12:13], v[16:17] neg_lo:[0,1] neg_hi:[0,1]
	v_pk_add_f32 v[16:17], v[10:11], 0 neg_lo:[1,1] neg_hi:[1,1]
	s_barrier
	v_pk_mov_b32 v[16:17], v[10:11], v[16:17] op_sel:[1,0]
	s_nop 0
	v_pk_mul_f32 v[4:5], v[4:5], v[16:17] op_sel_hi:[0,1]
	v_pk_fma_f32 v[4:5], v[10:11], v[20:21], v[4:5] op_sel_hi:[1,0,1] neg_lo:[1,0,0] neg_hi:[1,0,0]
	v_pk_add_f32 v[10:11], v[14:15], 0 neg_lo:[1,1] neg_hi:[1,1]
	s_nop 0
	v_pk_mov_b32 v[10:11], v[14:15], v[10:11] op_sel:[1,0]
	s_nop 0
	v_pk_mul_f32 v[10:11], v[22:23], v[10:11] op_sel_hi:[0,1]
	v_pk_fma_f32 v[8:9], v[14:15], v[8:9], v[10:11] op_sel_hi:[1,0,1] neg_lo:[1,0,0] neg_hi:[1,0,0]
	ds_write2st64_b64 v2, v[4:5], v[6:7] offset1:8
	ds_write2st64_b64 v2, v[8:9], v[12:13] offset0:16 offset1:32
	s_waitcnt lgkmcnt(0)
	s_barrier
	s_and_saveexec_b64 s[6:7], vcc
	s_cbranch_execz .LBB62_2
; %bb.1:
	v_or_b32_e32 v0, 0x1000, v2
	v_or_b32_e32 v3, 0x2000, v2
	;; [unrolled: 1-line block ×3, first 2 shown]
	ds_read2st64_b64 v[4:7], v0 offset1:4
	ds_read_b64 v[8:9], v3
	ds_read_b32 v0, v23
	ds_read_b64 v[10:11], v23
	ds_read_b64 v[12:13], v2 offset:2048
	s_waitcnt lgkmcnt(4)
	v_xor_b32_e32 v14, 0x80000000, v7
	s_waitcnt lgkmcnt(3)
	v_xor_b32_e32 v16, 0x80000000, v9
	v_mov_b32_e32 v15, v6
	v_mov_b32_e32 v17, v8
	v_pk_mul_f32 v[18:19], v[4:5], v[14:15] op_sel:[1,0]
	s_waitcnt lgkmcnt(0)
	v_pk_mul_f32 v[20:21], v[12:13], v[16:17] op_sel:[1,0]
	v_pk_fma_f32 v[18:19], v[6:7], v[4:5], v[18:19] op_sel_hi:[1,0,1]
	v_pk_fma_f32 v[20:21], v[8:9], v[12:13], v[20:21] op_sel_hi:[1,0,1]
	s_nop 0
	v_pk_add_f32 v[18:19], v[18:19], v[20:21] neg_lo:[0,1] neg_hi:[0,1]
	ds_read_b32 v20, v23 offset:4
	v_mul_f32_e32 v3, v19, v19
	v_fmac_f32_e32 v3, v18, v18
	v_div_scale_f32 v21, s[8:9], v3, v3, 1.0
	v_rcp_f32_e32 v22, v21
	s_nop 0
	v_fma_f32 v24, -v21, v22, 1.0
	v_fmac_f32_e32 v22, v24, v22
	v_div_scale_f32 v24, vcc, 1.0, v3, 1.0
	v_mul_f32_e32 v25, v24, v22
	v_fma_f32 v26, -v21, v25, v24
	v_fmac_f32_e32 v25, v26, v22
	v_fma_f32 v21, -v21, v25, v24
	v_div_fmas_f32 v21, v21, v22, v25
	ds_read_b32 v24, v23 offset:2052
	ds_read_b32 v26, v23 offset:2048
	ds_read_b64 v[28:29], v23 offset:2048
	v_div_fixup_f32 v3, v21, v3, 1.0
	v_fma_f32 v21, 0, v19, v18
	s_waitcnt lgkmcnt(3)
	v_pk_mul_f32 v[14:15], v[20:21], v[14:15] op_sel_hi:[0,1]
	v_pk_fma_f32 v[6:7], v[6:7], v[0:1], v[14:15] op_sel_hi:[1,0,1]
	s_waitcnt lgkmcnt(2)
	v_pk_mul_f32 v[14:15], v[24:25], v[16:17] op_sel_hi:[0,1]
	s_waitcnt lgkmcnt(1)
	v_pk_fma_f32 v[8:9], v[8:9], v[26:27], v[14:15] op_sel_hi:[1,0,1]
	v_fma_f32 v18, v18, 0, -v19
	v_pk_add_f32 v[6:7], v[6:7], v[8:9] neg_lo:[0,1] neg_hi:[0,1]
	v_mul_f32_e32 v18, v18, v3
	v_xor_b32_e32 v8, 0x80000000, v7
	v_mov_b32_e32 v9, v6
	v_mul_f32_e32 v22, v21, v3
	v_pk_mul_f32 v[8:9], v[18:19], v[8:9] op_sel_hi:[0,1]
	v_pk_fma_f32 v[6:7], v[6:7], v[22:23], v[8:9] op_sel_hi:[1,0,1]
	s_waitcnt lgkmcnt(0)
	v_xor_b32_e32 v8, 0x80000000, v29
	v_mov_b32_e32 v9, v28
	v_pk_mul_f32 v[8:9], v[4:5], v[8:9] op_sel:[1,0]
	s_nop 0
	v_pk_fma_f32 v[4:5], v[28:29], v[4:5], v[8:9] op_sel_hi:[1,0,1]
	v_xor_b32_e32 v8, 0x80000000, v11
	v_mov_b32_e32 v9, v10
	v_pk_mul_f32 v[8:9], v[12:13], v[8:9] op_sel:[1,0]
	s_nop 0
	v_pk_fma_f32 v[8:9], v[10:11], v[12:13], v[8:9] op_sel_hi:[1,0,1]
	s_nop 0
	v_pk_add_f32 v[4:5], v[4:5], v[8:9] neg_lo:[0,1] neg_hi:[0,1]
	s_nop 0
	v_xor_b32_e32 v8, 0x80000000, v5
	v_mov_b32_e32 v9, v4
	v_pk_mul_f32 v[8:9], v[18:19], v[8:9] op_sel_hi:[0,1]
	v_pk_fma_f32 v[4:5], v[4:5], v[22:23], v[8:9] op_sel_hi:[1,0,1]
	ds_write2st64_b64 v2, v[6:7], v[4:5] offset0:24 offset1:28
.LBB62_2:
	s_or_b64 exec, exec, s[6:7]
	s_waitcnt lgkmcnt(0)
	s_barrier
	s_and_saveexec_b64 s[6:7], s[4:5]
	s_cbranch_execz .LBB62_4
; %bb.3:
	s_load_dword s2, s[0:1], 0x8
	s_load_dwordx2 s[4:5], s[0:1], 0x30
	ds_read_b64 v[2:3], v2 offset:12288
	s_waitcnt lgkmcnt(0)
	s_mul_i32 s2, s2, s3
	v_add_u32_e32 v0, s2, v1
	v_mov_b32_e32 v1, 0
	v_lshl_add_u64 v[0:1], v[0:1], 3, s[4:5]
	global_store_dwordx2 v[0:1], v[2:3], off
.LBB62_4:
	s_endpgm
	.section	.rodata,"a",@progbits
	.p2align	6, 0x0
	.amdhsa_kernel _ZN9rocsparseL44gtsv_nopivot_strided_batch_pcr_stage2_kernelILj512E21rocsparse_complex_numIfEEEviiiPKT0_S5_S5_S5_PS3_
		.amdhsa_group_segment_fixed_size 20480
		.amdhsa_private_segment_fixed_size 0
		.amdhsa_kernarg_size 312
		.amdhsa_user_sgpr_count 2
		.amdhsa_user_sgpr_dispatch_ptr 0
		.amdhsa_user_sgpr_queue_ptr 0
		.amdhsa_user_sgpr_kernarg_segment_ptr 1
		.amdhsa_user_sgpr_dispatch_id 0
		.amdhsa_user_sgpr_kernarg_preload_length 0
		.amdhsa_user_sgpr_kernarg_preload_offset 0
		.amdhsa_user_sgpr_private_segment_size 0
		.amdhsa_uses_dynamic_stack 0
		.amdhsa_enable_private_segment 0
		.amdhsa_system_sgpr_workgroup_id_x 1
		.amdhsa_system_sgpr_workgroup_id_y 1
		.amdhsa_system_sgpr_workgroup_id_z 0
		.amdhsa_system_sgpr_workgroup_info 0
		.amdhsa_system_vgpr_workitem_id 0
		.amdhsa_next_free_vgpr 47
		.amdhsa_next_free_sgpr 16
		.amdhsa_accum_offset 48
		.amdhsa_reserve_vcc 1
		.amdhsa_float_round_mode_32 0
		.amdhsa_float_round_mode_16_64 0
		.amdhsa_float_denorm_mode_32 3
		.amdhsa_float_denorm_mode_16_64 3
		.amdhsa_dx10_clamp 1
		.amdhsa_ieee_mode 1
		.amdhsa_fp16_overflow 0
		.amdhsa_tg_split 0
		.amdhsa_exception_fp_ieee_invalid_op 0
		.amdhsa_exception_fp_denorm_src 0
		.amdhsa_exception_fp_ieee_div_zero 0
		.amdhsa_exception_fp_ieee_overflow 0
		.amdhsa_exception_fp_ieee_underflow 0
		.amdhsa_exception_fp_ieee_inexact 0
		.amdhsa_exception_int_div_zero 0
	.end_amdhsa_kernel
	.section	.text._ZN9rocsparseL44gtsv_nopivot_strided_batch_pcr_stage2_kernelILj512E21rocsparse_complex_numIfEEEviiiPKT0_S5_S5_S5_PS3_,"axG",@progbits,_ZN9rocsparseL44gtsv_nopivot_strided_batch_pcr_stage2_kernelILj512E21rocsparse_complex_numIfEEEviiiPKT0_S5_S5_S5_PS3_,comdat
.Lfunc_end62:
	.size	_ZN9rocsparseL44gtsv_nopivot_strided_batch_pcr_stage2_kernelILj512E21rocsparse_complex_numIfEEEviiiPKT0_S5_S5_S5_PS3_, .Lfunc_end62-_ZN9rocsparseL44gtsv_nopivot_strided_batch_pcr_stage2_kernelILj512E21rocsparse_complex_numIfEEEviiiPKT0_S5_S5_S5_PS3_
                                        ; -- End function
	.set _ZN9rocsparseL44gtsv_nopivot_strided_batch_pcr_stage2_kernelILj512E21rocsparse_complex_numIfEEEviiiPKT0_S5_S5_S5_PS3_.num_vgpr, 47
	.set _ZN9rocsparseL44gtsv_nopivot_strided_batch_pcr_stage2_kernelILj512E21rocsparse_complex_numIfEEEviiiPKT0_S5_S5_S5_PS3_.num_agpr, 0
	.set _ZN9rocsparseL44gtsv_nopivot_strided_batch_pcr_stage2_kernelILj512E21rocsparse_complex_numIfEEEviiiPKT0_S5_S5_S5_PS3_.numbered_sgpr, 16
	.set _ZN9rocsparseL44gtsv_nopivot_strided_batch_pcr_stage2_kernelILj512E21rocsparse_complex_numIfEEEviiiPKT0_S5_S5_S5_PS3_.num_named_barrier, 0
	.set _ZN9rocsparseL44gtsv_nopivot_strided_batch_pcr_stage2_kernelILj512E21rocsparse_complex_numIfEEEviiiPKT0_S5_S5_S5_PS3_.private_seg_size, 0
	.set _ZN9rocsparseL44gtsv_nopivot_strided_batch_pcr_stage2_kernelILj512E21rocsparse_complex_numIfEEEviiiPKT0_S5_S5_S5_PS3_.uses_vcc, 1
	.set _ZN9rocsparseL44gtsv_nopivot_strided_batch_pcr_stage2_kernelILj512E21rocsparse_complex_numIfEEEviiiPKT0_S5_S5_S5_PS3_.uses_flat_scratch, 0
	.set _ZN9rocsparseL44gtsv_nopivot_strided_batch_pcr_stage2_kernelILj512E21rocsparse_complex_numIfEEEviiiPKT0_S5_S5_S5_PS3_.has_dyn_sized_stack, 0
	.set _ZN9rocsparseL44gtsv_nopivot_strided_batch_pcr_stage2_kernelILj512E21rocsparse_complex_numIfEEEviiiPKT0_S5_S5_S5_PS3_.has_recursion, 0
	.set _ZN9rocsparseL44gtsv_nopivot_strided_batch_pcr_stage2_kernelILj512E21rocsparse_complex_numIfEEEviiiPKT0_S5_S5_S5_PS3_.has_indirect_call, 0
	.section	.AMDGPU.csdata,"",@progbits
; Kernel info:
; codeLenInByte = 5400
; TotalNumSgprs: 22
; NumVgprs: 47
; NumAgprs: 0
; TotalNumVgprs: 47
; ScratchSize: 0
; MemoryBound: 0
; FloatMode: 240
; IeeeMode: 1
; LDSByteSize: 20480 bytes/workgroup (compile time only)
; SGPRBlocks: 2
; VGPRBlocks: 5
; NumSGPRsForWavesPerEU: 22
; NumVGPRsForWavesPerEU: 47
; AccumOffset: 48
; Occupancy: 8
; WaveLimiterHint : 0
; COMPUTE_PGM_RSRC2:SCRATCH_EN: 0
; COMPUTE_PGM_RSRC2:USER_SGPR: 2
; COMPUTE_PGM_RSRC2:TRAP_HANDLER: 0
; COMPUTE_PGM_RSRC2:TGID_X_EN: 1
; COMPUTE_PGM_RSRC2:TGID_Y_EN: 1
; COMPUTE_PGM_RSRC2:TGID_Z_EN: 0
; COMPUTE_PGM_RSRC2:TIDIG_COMP_CNT: 0
; COMPUTE_PGM_RSRC3_GFX90A:ACCUM_OFFSET: 11
; COMPUTE_PGM_RSRC3_GFX90A:TG_SPLIT: 0
	.section	.text._ZN9rocsparseL49gtsv_nopivot_strided_batch_pcr_pow2_shared_kernelILj2E21rocsparse_complex_numIdEEEviiiPKT0_S5_S5_PS3_,"axG",@progbits,_ZN9rocsparseL49gtsv_nopivot_strided_batch_pcr_pow2_shared_kernelILj2E21rocsparse_complex_numIdEEEviiiPKT0_S5_S5_PS3_,comdat
	.globl	_ZN9rocsparseL49gtsv_nopivot_strided_batch_pcr_pow2_shared_kernelILj2E21rocsparse_complex_numIdEEEviiiPKT0_S5_S5_PS3_ ; -- Begin function _ZN9rocsparseL49gtsv_nopivot_strided_batch_pcr_pow2_shared_kernelILj2E21rocsparse_complex_numIdEEEviiiPKT0_S5_S5_PS3_
	.p2align	8
	.type	_ZN9rocsparseL49gtsv_nopivot_strided_batch_pcr_pow2_shared_kernelILj2E21rocsparse_complex_numIdEEEviiiPKT0_S5_S5_PS3_,@function
_ZN9rocsparseL49gtsv_nopivot_strided_batch_pcr_pow2_shared_kernelILj2E21rocsparse_complex_numIdEEEviiiPKT0_S5_S5_PS3_: ; @_ZN9rocsparseL49gtsv_nopivot_strided_batch_pcr_pow2_shared_kernelILj2E21rocsparse_complex_numIdEEEviiiPKT0_S5_S5_PS3_
; %bb.0:
	s_load_dword s3, s[0:1], 0x8
	s_load_dwordx8 s[4:11], s[0:1], 0x10
	v_lshlrev_b32_e32 v1, 4, v0
	v_cmp_eq_u32_e32 vcc, 0, v0
	s_waitcnt lgkmcnt(0)
	s_mul_i32 s3, s3, s2
	v_add_u32_e32 v2, s3, v0
	v_ashrrev_i32_e32 v3, 31, v2
	v_lshlrev_b64 v[2:3], 4, v[2:3]
	v_lshl_add_u64 v[12:13], s[4:5], 0, v[2:3]
	v_lshl_add_u64 v[14:15], s[6:7], 0, v[2:3]
	global_load_dwordx4 v[4:7], v[12:13], off
	global_load_dwordx4 v[8:11], v[14:15], off
	v_lshl_add_u64 v[12:13], s[8:9], 0, v[2:3]
	global_load_dwordx4 v[12:15], v[12:13], off
	v_lshl_add_u64 v[2:3], s[10:11], 0, v[2:3]
	global_load_dwordx4 v[16:19], v[2:3], off
	s_waitcnt vmcnt(3)
	ds_write2_b64 v1, v[4:5], v[6:7] offset1:1
	s_waitcnt vmcnt(2)
	ds_write2_b64 v1, v[8:9], v[10:11] offset0:6 offset1:7
	s_waitcnt vmcnt(1)
	ds_write2_b64 v1, v[12:13], v[14:15] offset0:12 offset1:13
	;; [unrolled: 2-line block ×3, first 2 shown]
	s_waitcnt lgkmcnt(0)
	; wave barrier
	s_and_saveexec_b64 s[0:1], vcc
	s_cbranch_execz .LBB63_2
; %bb.1:
	v_add_u32_e32 v0, 48, v1
	ds_read_b128 v[4:7], v0
	v_mov_b32_e32 v0, 0
	v_or_b32_e32 v16, 0x60, v1
	ds_read_b128 v[8:11], v0 offset:64
	ds_read_b128 v[12:15], v0 offset:16
	ds_read_b128 v[16:19], v16
	ds_read_b128 v[20:23], v0 offset:208
	v_or_b32_e32 v24, 0xc0, v1
	ds_read_b128 v[24:27], v24
	s_waitcnt lgkmcnt(4)
	v_mul_f64 v[30:31], v[6:7], v[8:9]
	s_waitcnt lgkmcnt(2)
	v_mul_f64 v[34:35], v[14:15], v[16:17]
	v_mul_f64 v[28:29], v[6:7], -v[10:11]
	v_fmac_f64_e32 v[30:31], v[10:11], v[4:5]
	v_mul_f64 v[32:33], v[14:15], -v[18:19]
	v_fmac_f64_e32 v[34:35], v[18:19], v[12:13]
	v_fmac_f64_e32 v[28:29], v[8:9], v[4:5]
	;; [unrolled: 1-line block ×3, first 2 shown]
	v_add_f64 v[30:31], v[30:31], -v[34:35]
	v_add_f64 v[28:29], v[28:29], -v[32:33]
	v_mul_f64 v[32:33], v[30:31], v[30:31]
	v_fmac_f64_e32 v[32:33], v[28:29], v[28:29]
	v_div_scale_f64 v[34:35], s[2:3], v[32:33], v[32:33], 1.0
	v_rcp_f64_e32 v[36:37], v[34:35]
	s_nop 0
	v_fma_f64 v[38:39], -v[34:35], v[36:37], 1.0
	v_fmac_f64_e32 v[36:37], v[36:37], v[38:39]
	v_fma_f64 v[38:39], -v[34:35], v[36:37], 1.0
	v_fmac_f64_e32 v[36:37], v[36:37], v[38:39]
	v_div_scale_f64 v[38:39], vcc, 1.0, v[32:33], 1.0
	v_mul_f64 v[40:41], v[38:39], v[36:37]
	v_fma_f64 v[34:35], -v[34:35], v[40:41], v[38:39]
	s_nop 1
	v_div_fmas_f64 v[34:35], v[34:35], v[36:37], v[40:41]
	v_div_fixup_f64 v[32:33], v[34:35], v[32:33], 1.0
	v_fma_f64 v[34:35], 0, v[30:31], v[28:29]
	v_fma_f64 v[28:29], v[28:29], 0, -v[30:31]
	s_waitcnt lgkmcnt(0)
	v_mul_f64 v[30:31], v[26:27], -v[10:11]
	v_fmac_f64_e32 v[30:31], v[8:9], v[24:25]
	v_mul_f64 v[8:9], v[8:9], v[26:27]
	v_fmac_f64_e32 v[8:9], v[10:11], v[24:25]
	v_mul_f64 v[10:11], v[22:23], -v[18:19]
	v_fmac_f64_e32 v[10:11], v[16:17], v[20:21]
	v_mul_f64 v[16:17], v[16:17], v[22:23]
	v_fmac_f64_e32 v[16:17], v[18:19], v[20:21]
	v_mul_f64 v[28:29], v[28:29], v[32:33]
	v_add_f64 v[16:17], v[8:9], -v[16:17]
	v_mul_f64 v[34:35], v[34:35], v[32:33]
	v_add_f64 v[10:11], v[30:31], -v[10:11]
	v_mul_f64 v[8:9], v[28:29], -v[16:17]
	v_fmac_f64_e32 v[8:9], v[10:11], v[34:35]
	v_mul_f64 v[10:11], v[28:29], v[10:11]
	v_fmac_f64_e32 v[10:11], v[16:17], v[34:35]
	ds_write_b128 v0, v[8:11] offset:144
	v_mul_f64 v[8:9], v[6:7], -v[22:23]
	v_mul_f64 v[6:7], v[6:7], v[20:21]
	v_fmac_f64_e32 v[8:9], v[20:21], v[4:5]
	v_fmac_f64_e32 v[6:7], v[22:23], v[4:5]
	v_mul_f64 v[4:5], v[14:15], -v[26:27]
	v_mul_f64 v[10:11], v[14:15], v[24:25]
	v_fmac_f64_e32 v[4:5], v[24:25], v[12:13]
	v_fmac_f64_e32 v[10:11], v[26:27], v[12:13]
	v_add_f64 v[8:9], v[8:9], -v[4:5]
	v_add_f64 v[10:11], v[6:7], -v[10:11]
	v_mul_f64 v[4:5], v[28:29], -v[10:11]
	v_mul_f64 v[6:7], v[28:29], v[8:9]
	v_fmac_f64_e32 v[4:5], v[8:9], v[34:35]
	v_fmac_f64_e32 v[6:7], v[10:11], v[34:35]
	ds_write_b128 v0, v[4:7] offset:160
.LBB63_2:
	s_or_b64 exec, exec, s[0:1]
	s_waitcnt lgkmcnt(0)
	; wave barrier
	ds_read2_b64 v[4:7], v1 offset0:18 offset1:19
	s_waitcnt lgkmcnt(0)
	global_store_dwordx4 v[2:3], v[4:7], off
	s_endpgm
	.section	.rodata,"a",@progbits
	.p2align	6, 0x0
	.amdhsa_kernel _ZN9rocsparseL49gtsv_nopivot_strided_batch_pcr_pow2_shared_kernelILj2E21rocsparse_complex_numIdEEEviiiPKT0_S5_S5_PS3_
		.amdhsa_group_segment_fixed_size 240
		.amdhsa_private_segment_fixed_size 0
		.amdhsa_kernarg_size 48
		.amdhsa_user_sgpr_count 2
		.amdhsa_user_sgpr_dispatch_ptr 0
		.amdhsa_user_sgpr_queue_ptr 0
		.amdhsa_user_sgpr_kernarg_segment_ptr 1
		.amdhsa_user_sgpr_dispatch_id 0
		.amdhsa_user_sgpr_kernarg_preload_length 0
		.amdhsa_user_sgpr_kernarg_preload_offset 0
		.amdhsa_user_sgpr_private_segment_size 0
		.amdhsa_uses_dynamic_stack 0
		.amdhsa_enable_private_segment 0
		.amdhsa_system_sgpr_workgroup_id_x 1
		.amdhsa_system_sgpr_workgroup_id_y 0
		.amdhsa_system_sgpr_workgroup_id_z 0
		.amdhsa_system_sgpr_workgroup_info 0
		.amdhsa_system_vgpr_workitem_id 0
		.amdhsa_next_free_vgpr 42
		.amdhsa_next_free_sgpr 12
		.amdhsa_accum_offset 44
		.amdhsa_reserve_vcc 1
		.amdhsa_float_round_mode_32 0
		.amdhsa_float_round_mode_16_64 0
		.amdhsa_float_denorm_mode_32 3
		.amdhsa_float_denorm_mode_16_64 3
		.amdhsa_dx10_clamp 1
		.amdhsa_ieee_mode 1
		.amdhsa_fp16_overflow 0
		.amdhsa_tg_split 0
		.amdhsa_exception_fp_ieee_invalid_op 0
		.amdhsa_exception_fp_denorm_src 0
		.amdhsa_exception_fp_ieee_div_zero 0
		.amdhsa_exception_fp_ieee_overflow 0
		.amdhsa_exception_fp_ieee_underflow 0
		.amdhsa_exception_fp_ieee_inexact 0
		.amdhsa_exception_int_div_zero 0
	.end_amdhsa_kernel
	.section	.text._ZN9rocsparseL49gtsv_nopivot_strided_batch_pcr_pow2_shared_kernelILj2E21rocsparse_complex_numIdEEEviiiPKT0_S5_S5_PS3_,"axG",@progbits,_ZN9rocsparseL49gtsv_nopivot_strided_batch_pcr_pow2_shared_kernelILj2E21rocsparse_complex_numIdEEEviiiPKT0_S5_S5_PS3_,comdat
.Lfunc_end63:
	.size	_ZN9rocsparseL49gtsv_nopivot_strided_batch_pcr_pow2_shared_kernelILj2E21rocsparse_complex_numIdEEEviiiPKT0_S5_S5_PS3_, .Lfunc_end63-_ZN9rocsparseL49gtsv_nopivot_strided_batch_pcr_pow2_shared_kernelILj2E21rocsparse_complex_numIdEEEviiiPKT0_S5_S5_PS3_
                                        ; -- End function
	.set _ZN9rocsparseL49gtsv_nopivot_strided_batch_pcr_pow2_shared_kernelILj2E21rocsparse_complex_numIdEEEviiiPKT0_S5_S5_PS3_.num_vgpr, 42
	.set _ZN9rocsparseL49gtsv_nopivot_strided_batch_pcr_pow2_shared_kernelILj2E21rocsparse_complex_numIdEEEviiiPKT0_S5_S5_PS3_.num_agpr, 0
	.set _ZN9rocsparseL49gtsv_nopivot_strided_batch_pcr_pow2_shared_kernelILj2E21rocsparse_complex_numIdEEEviiiPKT0_S5_S5_PS3_.numbered_sgpr, 12
	.set _ZN9rocsparseL49gtsv_nopivot_strided_batch_pcr_pow2_shared_kernelILj2E21rocsparse_complex_numIdEEEviiiPKT0_S5_S5_PS3_.num_named_barrier, 0
	.set _ZN9rocsparseL49gtsv_nopivot_strided_batch_pcr_pow2_shared_kernelILj2E21rocsparse_complex_numIdEEEviiiPKT0_S5_S5_PS3_.private_seg_size, 0
	.set _ZN9rocsparseL49gtsv_nopivot_strided_batch_pcr_pow2_shared_kernelILj2E21rocsparse_complex_numIdEEEviiiPKT0_S5_S5_PS3_.uses_vcc, 1
	.set _ZN9rocsparseL49gtsv_nopivot_strided_batch_pcr_pow2_shared_kernelILj2E21rocsparse_complex_numIdEEEviiiPKT0_S5_S5_PS3_.uses_flat_scratch, 0
	.set _ZN9rocsparseL49gtsv_nopivot_strided_batch_pcr_pow2_shared_kernelILj2E21rocsparse_complex_numIdEEEviiiPKT0_S5_S5_PS3_.has_dyn_sized_stack, 0
	.set _ZN9rocsparseL49gtsv_nopivot_strided_batch_pcr_pow2_shared_kernelILj2E21rocsparse_complex_numIdEEEviiiPKT0_S5_S5_PS3_.has_recursion, 0
	.set _ZN9rocsparseL49gtsv_nopivot_strided_batch_pcr_pow2_shared_kernelILj2E21rocsparse_complex_numIdEEEviiiPKT0_S5_S5_PS3_.has_indirect_call, 0
	.section	.AMDGPU.csdata,"",@progbits
; Kernel info:
; codeLenInByte = 672
; TotalNumSgprs: 18
; NumVgprs: 42
; NumAgprs: 0
; TotalNumVgprs: 42
; ScratchSize: 0
; MemoryBound: 0
; FloatMode: 240
; IeeeMode: 1
; LDSByteSize: 240 bytes/workgroup (compile time only)
; SGPRBlocks: 2
; VGPRBlocks: 5
; NumSGPRsForWavesPerEU: 18
; NumVGPRsForWavesPerEU: 42
; AccumOffset: 44
; Occupancy: 8
; WaveLimiterHint : 0
; COMPUTE_PGM_RSRC2:SCRATCH_EN: 0
; COMPUTE_PGM_RSRC2:USER_SGPR: 2
; COMPUTE_PGM_RSRC2:TRAP_HANDLER: 0
; COMPUTE_PGM_RSRC2:TGID_X_EN: 1
; COMPUTE_PGM_RSRC2:TGID_Y_EN: 0
; COMPUTE_PGM_RSRC2:TGID_Z_EN: 0
; COMPUTE_PGM_RSRC2:TIDIG_COMP_CNT: 0
; COMPUTE_PGM_RSRC3_GFX90A:ACCUM_OFFSET: 10
; COMPUTE_PGM_RSRC3_GFX90A:TG_SPLIT: 0
	.section	.text._ZN9rocsparseL49gtsv_nopivot_strided_batch_pcr_pow2_shared_kernelILj4E21rocsparse_complex_numIdEEEviiiPKT0_S5_S5_PS3_,"axG",@progbits,_ZN9rocsparseL49gtsv_nopivot_strided_batch_pcr_pow2_shared_kernelILj4E21rocsparse_complex_numIdEEEviiiPKT0_S5_S5_PS3_,comdat
	.globl	_ZN9rocsparseL49gtsv_nopivot_strided_batch_pcr_pow2_shared_kernelILj4E21rocsparse_complex_numIdEEEviiiPKT0_S5_S5_PS3_ ; -- Begin function _ZN9rocsparseL49gtsv_nopivot_strided_batch_pcr_pow2_shared_kernelILj4E21rocsparse_complex_numIdEEEviiiPKT0_S5_S5_PS3_
	.p2align	8
	.type	_ZN9rocsparseL49gtsv_nopivot_strided_batch_pcr_pow2_shared_kernelILj4E21rocsparse_complex_numIdEEEviiiPKT0_S5_S5_PS3_,@function
_ZN9rocsparseL49gtsv_nopivot_strided_batch_pcr_pow2_shared_kernelILj4E21rocsparse_complex_numIdEEEviiiPKT0_S5_S5_PS3_: ; @_ZN9rocsparseL49gtsv_nopivot_strided_batch_pcr_pow2_shared_kernelILj4E21rocsparse_complex_numIdEEEviiiPKT0_S5_S5_PS3_
; %bb.0:
	s_load_dword s3, s[0:1], 0x8
	s_load_dwordx8 s[4:11], s[0:1], 0x10
	v_sub_u32_e64 v21, v0, 1 clamp
	v_lshlrev_b32_e32 v1, 4, v0
	v_min_u32_e32 v20, 2, v0
	s_waitcnt lgkmcnt(0)
	s_mul_i32 s3, s3, s2
	v_add_u32_e32 v2, s3, v0
	v_ashrrev_i32_e32 v3, 31, v2
	v_lshlrev_b64 v[2:3], 4, v[2:3]
	v_lshl_add_u64 v[12:13], s[4:5], 0, v[2:3]
	v_lshl_add_u64 v[14:15], s[6:7], 0, v[2:3]
	global_load_dwordx4 v[4:7], v[12:13], off
	global_load_dwordx4 v[8:11], v[14:15], off
	v_lshl_add_u64 v[12:13], s[8:9], 0, v[2:3]
	global_load_dwordx4 v[12:15], v[12:13], off
	v_lshl_add_u64 v[2:3], s[10:11], 0, v[2:3]
	global_load_dwordx4 v[16:19], v[2:3], off
	v_lshlrev_b32_e32 v40, 4, v21
	v_lshlrev_b32_e32 v60, 4, v20
	s_waitcnt vmcnt(3)
	ds_write2_b64 v1, v[4:5], v[6:7] offset1:1
	s_waitcnt vmcnt(2)
	ds_write2_b64 v1, v[8:9], v[10:11] offset0:10 offset1:11
	s_waitcnt vmcnt(1)
	ds_write2_b64 v1, v[12:13], v[14:15] offset0:20 offset1:21
	;; [unrolled: 2-line block ×3, first 2 shown]
	s_waitcnt lgkmcnt(0)
	; wave barrier
	ds_read_b128 v[4:7], v40 offset:80
	ds_read_b128 v[8:11], v1
	ds_read_b128 v[12:15], v1 offset:80
	ds_read_b128 v[16:19], v60 offset:96
	;; [unrolled: 1-line block ×7, first 2 shown]
	ds_read_b128 v[40:43], v40
	s_waitcnt lgkmcnt(9)
	v_mul_f64 v[44:45], v[6:7], v[6:7]
	s_waitcnt lgkmcnt(8)
	v_mul_f64 v[46:47], v[6:7], v[10:11]
	v_mul_f64 v[48:49], v[6:7], -v[8:9]
	s_waitcnt lgkmcnt(6)
	v_mul_f64 v[50:51], v[18:19], v[18:19]
	v_fmac_f64_e32 v[44:45], v[4:5], v[4:5]
	s_waitcnt lgkmcnt(2)
	v_mul_f64 v[52:53], v[18:19], v[34:35]
	v_mul_f64 v[18:19], v[18:19], -v[32:33]
	v_fmac_f64_e32 v[46:47], v[8:9], v[4:5]
	v_fmac_f64_e32 v[48:49], v[10:11], v[4:5]
	;; [unrolled: 1-line block ×3, first 2 shown]
	v_div_scale_f64 v[4:5], s[0:1], v[44:45], v[44:45], 1.0
	v_fmac_f64_e32 v[52:53], v[32:33], v[16:17]
	v_fmac_f64_e32 v[18:19], v[34:35], v[16:17]
	v_div_scale_f64 v[8:9], s[0:1], v[50:51], v[50:51], 1.0
	v_rcp_f64_e32 v[16:17], v[4:5]
	v_rcp_f64_e32 v[32:33], v[8:9]
	v_div_scale_f64 v[6:7], vcc, 1.0, v[44:45], 1.0
	v_fma_f64 v[34:35], -v[4:5], v[16:17], 1.0
	v_fma_f64 v[54:55], -v[8:9], v[32:33], 1.0
	v_fmac_f64_e32 v[16:17], v[16:17], v[34:35]
	v_fmac_f64_e32 v[32:33], v[32:33], v[54:55]
	v_fma_f64 v[34:35], -v[4:5], v[16:17], 1.0
	v_fma_f64 v[54:55], -v[8:9], v[32:33], 1.0
	v_fmac_f64_e32 v[16:17], v[16:17], v[34:35]
	v_div_scale_f64 v[10:11], s[0:1], 1.0, v[50:51], 1.0
	v_fmac_f64_e32 v[32:33], v[32:33], v[54:55]
	v_mul_f64 v[34:35], v[6:7], v[16:17]
	v_mul_f64 v[54:55], v[10:11], v[32:33]
	v_fma_f64 v[56:57], -v[4:5], v[34:35], v[6:7]
	v_fma_f64 v[58:59], -v[8:9], v[54:55], v[10:11]
	ds_read_b128 v[4:7], v60 offset:336
	ds_read_b128 v[8:11], v60 offset:176
	v_div_fmas_f64 v[16:17], v[56:57], v[16:17], v[34:35]
	s_mov_b64 vcc, s[0:1]
	v_div_fixup_f64 v[16:17], v[16:17], v[44:45], 1.0
	v_div_fmas_f64 v[32:33], v[58:59], v[32:33], v[54:55]
	v_mul_f64 v[34:35], v[16:17], v[46:47]
	v_mul_f64 v[16:17], v[16:17], v[48:49]
	v_div_fixup_f64 v[32:33], v[32:33], v[50:51], 1.0
	v_mul_f64 v[44:45], v[32:33], v[52:53]
	v_mul_f64 v[32:33], v[32:33], v[18:19]
	v_mul_f64 v[46:47], v[16:17], -v[26:27]
	v_mul_f64 v[48:49], v[16:17], v[24:25]
	v_mul_f64 v[50:51], v[16:17], -v[30:31]
	v_mul_f64 v[52:53], v[16:17], v[28:29]
	s_waitcnt lgkmcnt(2)
	v_mul_f64 v[18:19], v[16:17], v[42:43]
	v_mul_f64 v[54:55], v[16:17], -v[40:41]
	v_fmac_f64_e32 v[46:47], v[24:25], v[34:35]
	v_fmac_f64_e32 v[48:49], v[26:27], v[34:35]
	v_mul_f64 v[24:25], v[32:33], -v[22:23]
	v_mul_f64 v[26:27], v[32:33], v[20:21]
	v_fmac_f64_e32 v[50:51], v[28:29], v[34:35]
	v_fmac_f64_e32 v[52:53], v[30:31], v[34:35]
	s_waitcnt lgkmcnt(1)
	v_mul_f64 v[28:29], v[32:33], -v[6:7]
	v_mul_f64 v[30:31], v[32:33], v[4:5]
	v_fma_f64 v[16:17], -v[40:41], v[34:35], v[18:19]
	v_fma_f64 v[18:19], -v[42:43], v[34:35], v[54:55]
	s_waitcnt lgkmcnt(0)
	v_mul_f64 v[34:35], v[32:33], v[10:11]
	v_mul_f64 v[32:33], v[32:33], -v[8:9]
	v_add_f64 v[12:13], v[12:13], -v[46:47]
	v_add_f64 v[14:15], v[14:15], -v[48:49]
	v_fmac_f64_e32 v[24:25], v[20:21], v[44:45]
	v_fmac_f64_e32 v[26:27], v[22:23], v[44:45]
	v_add_f64 v[20:21], v[36:37], -v[50:51]
	v_add_f64 v[22:23], v[38:39], -v[52:53]
	v_fmac_f64_e32 v[28:29], v[4:5], v[44:45]
	v_fmac_f64_e32 v[30:31], v[6:7], v[44:45]
	v_fma_f64 v[4:5], -v[8:9], v[44:45], v[34:35]
	v_fma_f64 v[6:7], -v[10:11], v[44:45], v[32:33]
	v_add_f64 v[8:9], v[12:13], -v[24:25]
	v_add_f64 v[10:11], v[14:15], -v[26:27]
	v_cmp_gt_u32_e32 vcc, 2, v0
	v_add_f64 v[12:13], v[20:21], -v[28:29]
	v_add_f64 v[14:15], v[22:23], -v[30:31]
	; wave barrier
	ds_write_b128 v1, v[8:11] offset:80
	ds_write_b128 v1, v[12:15] offset:320
	ds_write_b128 v1, v[16:19]
	ds_write_b128 v1, v[4:7] offset:160
	s_waitcnt lgkmcnt(0)
	; wave barrier
	s_and_saveexec_b64 s[0:1], vcc
	s_cbranch_execz .LBB64_2
; %bb.1:
	v_add_u32_e32 v0, 0x50, v1
	ds_read_b128 v[4:7], v0
	ds_read_b128 v[8:11], v0 offset:32
	v_add_u32_e32 v0, 0xa0, v1
	ds_read_b128 v[12:15], v1 offset:32
	ds_read_b128 v[16:19], v0
	v_or_b32_e32 v0, 0x140, v1
	s_waitcnt lgkmcnt(2)
	v_mul_f64 v[22:23], v[6:7], v[8:9]
	v_mul_f64 v[20:21], v[6:7], -v[10:11]
	s_waitcnt lgkmcnt(0)
	v_mul_f64 v[26:27], v[14:15], v[16:17]
	v_fmac_f64_e32 v[22:23], v[10:11], v[4:5]
	v_mul_f64 v[24:25], v[14:15], -v[18:19]
	v_fmac_f64_e32 v[26:27], v[18:19], v[12:13]
	v_fmac_f64_e32 v[20:21], v[8:9], v[4:5]
	;; [unrolled: 1-line block ×3, first 2 shown]
	v_add_f64 v[26:27], v[22:23], -v[26:27]
	v_add_f64 v[24:25], v[20:21], -v[24:25]
	v_mul_f64 v[20:21], v[26:27], v[26:27]
	v_fmac_f64_e32 v[20:21], v[24:25], v[24:25]
	v_div_scale_f64 v[22:23], s[2:3], v[20:21], v[20:21], 1.0
	v_rcp_f64_e32 v[28:29], v[22:23]
	s_nop 0
	v_fma_f64 v[30:31], -v[22:23], v[28:29], 1.0
	v_fmac_f64_e32 v[28:29], v[28:29], v[30:31]
	v_fma_f64 v[30:31], -v[22:23], v[28:29], 1.0
	v_fmac_f64_e32 v[28:29], v[28:29], v[30:31]
	v_div_scale_f64 v[30:31], vcc, 1.0, v[20:21], 1.0
	v_mul_f64 v[32:33], v[30:31], v[28:29]
	v_fma_f64 v[22:23], -v[22:23], v[32:33], v[30:31]
	v_fma_f64 v[30:31], 0, v[26:27], v[24:25]
	s_nop 0
	v_div_fmas_f64 v[22:23], v[22:23], v[28:29], v[32:33]
	v_div_fixup_f64 v[28:29], v[22:23], v[20:21], 1.0
	ds_read_b128 v[20:23], v0
	v_fma_f64 v[24:25], v[24:25], 0, -v[26:27]
	v_mul_f64 v[30:31], v[30:31], v[28:29]
	v_mul_f64 v[28:29], v[24:25], v[28:29]
	ds_read_b128 v[24:27], v0 offset:32
	s_waitcnt lgkmcnt(1)
	v_mul_f64 v[32:33], v[22:23], -v[10:11]
	v_fmac_f64_e32 v[32:33], v[8:9], v[20:21]
	v_mul_f64 v[8:9], v[8:9], v[22:23]
	v_fmac_f64_e32 v[8:9], v[10:11], v[20:21]
	s_waitcnt lgkmcnt(0)
	v_mul_f64 v[10:11], v[26:27], -v[18:19]
	v_fmac_f64_e32 v[10:11], v[16:17], v[24:25]
	v_mul_f64 v[16:17], v[16:17], v[26:27]
	v_fmac_f64_e32 v[16:17], v[18:19], v[24:25]
	v_add_f64 v[16:17], v[8:9], -v[16:17]
	v_add_f64 v[10:11], v[32:33], -v[10:11]
	v_mul_f64 v[8:9], v[28:29], -v[16:17]
	v_fmac_f64_e32 v[8:9], v[10:11], v[30:31]
	v_mul_f64 v[10:11], v[28:29], v[10:11]
	v_fmac_f64_e32 v[10:11], v[16:17], v[30:31]
	ds_write_b128 v1, v[8:11] offset:240
	v_mul_f64 v[8:9], v[6:7], -v[26:27]
	v_mul_f64 v[6:7], v[6:7], v[24:25]
	v_fmac_f64_e32 v[8:9], v[24:25], v[4:5]
	v_fmac_f64_e32 v[6:7], v[26:27], v[4:5]
	v_mul_f64 v[4:5], v[14:15], -v[22:23]
	v_mul_f64 v[10:11], v[14:15], v[20:21]
	v_fmac_f64_e32 v[4:5], v[20:21], v[12:13]
	v_fmac_f64_e32 v[10:11], v[22:23], v[12:13]
	v_add_f64 v[8:9], v[8:9], -v[4:5]
	v_add_f64 v[10:11], v[6:7], -v[10:11]
	v_mul_f64 v[4:5], v[28:29], -v[10:11]
	v_mul_f64 v[6:7], v[28:29], v[8:9]
	v_fmac_f64_e32 v[4:5], v[8:9], v[30:31]
	v_fmac_f64_e32 v[6:7], v[10:11], v[30:31]
	ds_write_b128 v1, v[4:7] offset:272
.LBB64_2:
	s_or_b64 exec, exec, s[0:1]
	s_waitcnt lgkmcnt(0)
	; wave barrier
	ds_read2_b64 v[4:7], v1 offset0:30 offset1:31
	s_waitcnt lgkmcnt(0)
	global_store_dwordx4 v[2:3], v[4:7], off
	s_endpgm
	.section	.rodata,"a",@progbits
	.p2align	6, 0x0
	.amdhsa_kernel _ZN9rocsparseL49gtsv_nopivot_strided_batch_pcr_pow2_shared_kernelILj4E21rocsparse_complex_numIdEEEviiiPKT0_S5_S5_PS3_
		.amdhsa_group_segment_fixed_size 400
		.amdhsa_private_segment_fixed_size 0
		.amdhsa_kernarg_size 48
		.amdhsa_user_sgpr_count 2
		.amdhsa_user_sgpr_dispatch_ptr 0
		.amdhsa_user_sgpr_queue_ptr 0
		.amdhsa_user_sgpr_kernarg_segment_ptr 1
		.amdhsa_user_sgpr_dispatch_id 0
		.amdhsa_user_sgpr_kernarg_preload_length 0
		.amdhsa_user_sgpr_kernarg_preload_offset 0
		.amdhsa_user_sgpr_private_segment_size 0
		.amdhsa_uses_dynamic_stack 0
		.amdhsa_enable_private_segment 0
		.amdhsa_system_sgpr_workgroup_id_x 1
		.amdhsa_system_sgpr_workgroup_id_y 0
		.amdhsa_system_sgpr_workgroup_id_z 0
		.amdhsa_system_sgpr_workgroup_info 0
		.amdhsa_system_vgpr_workitem_id 0
		.amdhsa_next_free_vgpr 61
		.amdhsa_next_free_sgpr 12
		.amdhsa_accum_offset 64
		.amdhsa_reserve_vcc 1
		.amdhsa_float_round_mode_32 0
		.amdhsa_float_round_mode_16_64 0
		.amdhsa_float_denorm_mode_32 3
		.amdhsa_float_denorm_mode_16_64 3
		.amdhsa_dx10_clamp 1
		.amdhsa_ieee_mode 1
		.amdhsa_fp16_overflow 0
		.amdhsa_tg_split 0
		.amdhsa_exception_fp_ieee_invalid_op 0
		.amdhsa_exception_fp_denorm_src 0
		.amdhsa_exception_fp_ieee_div_zero 0
		.amdhsa_exception_fp_ieee_overflow 0
		.amdhsa_exception_fp_ieee_underflow 0
		.amdhsa_exception_fp_ieee_inexact 0
		.amdhsa_exception_int_div_zero 0
	.end_amdhsa_kernel
	.section	.text._ZN9rocsparseL49gtsv_nopivot_strided_batch_pcr_pow2_shared_kernelILj4E21rocsparse_complex_numIdEEEviiiPKT0_S5_S5_PS3_,"axG",@progbits,_ZN9rocsparseL49gtsv_nopivot_strided_batch_pcr_pow2_shared_kernelILj4E21rocsparse_complex_numIdEEEviiiPKT0_S5_S5_PS3_,comdat
.Lfunc_end64:
	.size	_ZN9rocsparseL49gtsv_nopivot_strided_batch_pcr_pow2_shared_kernelILj4E21rocsparse_complex_numIdEEEviiiPKT0_S5_S5_PS3_, .Lfunc_end64-_ZN9rocsparseL49gtsv_nopivot_strided_batch_pcr_pow2_shared_kernelILj4E21rocsparse_complex_numIdEEEviiiPKT0_S5_S5_PS3_
                                        ; -- End function
	.set _ZN9rocsparseL49gtsv_nopivot_strided_batch_pcr_pow2_shared_kernelILj4E21rocsparse_complex_numIdEEEviiiPKT0_S5_S5_PS3_.num_vgpr, 61
	.set _ZN9rocsparseL49gtsv_nopivot_strided_batch_pcr_pow2_shared_kernelILj4E21rocsparse_complex_numIdEEEviiiPKT0_S5_S5_PS3_.num_agpr, 0
	.set _ZN9rocsparseL49gtsv_nopivot_strided_batch_pcr_pow2_shared_kernelILj4E21rocsparse_complex_numIdEEEviiiPKT0_S5_S5_PS3_.numbered_sgpr, 12
	.set _ZN9rocsparseL49gtsv_nopivot_strided_batch_pcr_pow2_shared_kernelILj4E21rocsparse_complex_numIdEEEviiiPKT0_S5_S5_PS3_.num_named_barrier, 0
	.set _ZN9rocsparseL49gtsv_nopivot_strided_batch_pcr_pow2_shared_kernelILj4E21rocsparse_complex_numIdEEEviiiPKT0_S5_S5_PS3_.private_seg_size, 0
	.set _ZN9rocsparseL49gtsv_nopivot_strided_batch_pcr_pow2_shared_kernelILj4E21rocsparse_complex_numIdEEEviiiPKT0_S5_S5_PS3_.uses_vcc, 1
	.set _ZN9rocsparseL49gtsv_nopivot_strided_batch_pcr_pow2_shared_kernelILj4E21rocsparse_complex_numIdEEEviiiPKT0_S5_S5_PS3_.uses_flat_scratch, 0
	.set _ZN9rocsparseL49gtsv_nopivot_strided_batch_pcr_pow2_shared_kernelILj4E21rocsparse_complex_numIdEEEviiiPKT0_S5_S5_PS3_.has_dyn_sized_stack, 0
	.set _ZN9rocsparseL49gtsv_nopivot_strided_batch_pcr_pow2_shared_kernelILj4E21rocsparse_complex_numIdEEEviiiPKT0_S5_S5_PS3_.has_recursion, 0
	.set _ZN9rocsparseL49gtsv_nopivot_strided_batch_pcr_pow2_shared_kernelILj4E21rocsparse_complex_numIdEEEviiiPKT0_S5_S5_PS3_.has_indirect_call, 0
	.section	.AMDGPU.csdata,"",@progbits
; Kernel info:
; codeLenInByte = 1340
; TotalNumSgprs: 18
; NumVgprs: 61
; NumAgprs: 0
; TotalNumVgprs: 61
; ScratchSize: 0
; MemoryBound: 0
; FloatMode: 240
; IeeeMode: 1
; LDSByteSize: 400 bytes/workgroup (compile time only)
; SGPRBlocks: 2
; VGPRBlocks: 7
; NumSGPRsForWavesPerEU: 18
; NumVGPRsForWavesPerEU: 61
; AccumOffset: 64
; Occupancy: 8
; WaveLimiterHint : 0
; COMPUTE_PGM_RSRC2:SCRATCH_EN: 0
; COMPUTE_PGM_RSRC2:USER_SGPR: 2
; COMPUTE_PGM_RSRC2:TRAP_HANDLER: 0
; COMPUTE_PGM_RSRC2:TGID_X_EN: 1
; COMPUTE_PGM_RSRC2:TGID_Y_EN: 0
; COMPUTE_PGM_RSRC2:TGID_Z_EN: 0
; COMPUTE_PGM_RSRC2:TIDIG_COMP_CNT: 0
; COMPUTE_PGM_RSRC3_GFX90A:ACCUM_OFFSET: 15
; COMPUTE_PGM_RSRC3_GFX90A:TG_SPLIT: 0
	.section	.text._ZN9rocsparseL49gtsv_nopivot_strided_batch_pcr_pow2_shared_kernelILj8E21rocsparse_complex_numIdEEEviiiPKT0_S5_S5_PS3_,"axG",@progbits,_ZN9rocsparseL49gtsv_nopivot_strided_batch_pcr_pow2_shared_kernelILj8E21rocsparse_complex_numIdEEEviiiPKT0_S5_S5_PS3_,comdat
	.globl	_ZN9rocsparseL49gtsv_nopivot_strided_batch_pcr_pow2_shared_kernelILj8E21rocsparse_complex_numIdEEEviiiPKT0_S5_S5_PS3_ ; -- Begin function _ZN9rocsparseL49gtsv_nopivot_strided_batch_pcr_pow2_shared_kernelILj8E21rocsparse_complex_numIdEEEviiiPKT0_S5_S5_PS3_
	.p2align	8
	.type	_ZN9rocsparseL49gtsv_nopivot_strided_batch_pcr_pow2_shared_kernelILj8E21rocsparse_complex_numIdEEEviiiPKT0_S5_S5_PS3_,@function
_ZN9rocsparseL49gtsv_nopivot_strided_batch_pcr_pow2_shared_kernelILj8E21rocsparse_complex_numIdEEEviiiPKT0_S5_S5_PS3_: ; @_ZN9rocsparseL49gtsv_nopivot_strided_batch_pcr_pow2_shared_kernelILj8E21rocsparse_complex_numIdEEEviiiPKT0_S5_S5_PS3_
; %bb.0:
	s_load_dword s3, s[0:1], 0x8
	s_load_dwordx8 s[4:11], s[0:1], 0x10
	v_sub_u32_e64 v21, v0, 1 clamp
	v_lshlrev_b32_e32 v1, 4, v0
	v_min_u32_e32 v20, 6, v0
	s_waitcnt lgkmcnt(0)
	s_mul_i32 s3, s3, s2
	v_add_u32_e32 v2, s3, v0
	v_ashrrev_i32_e32 v3, 31, v2
	v_lshlrev_b64 v[2:3], 4, v[2:3]
	v_lshl_add_u64 v[12:13], s[4:5], 0, v[2:3]
	v_lshl_add_u64 v[14:15], s[6:7], 0, v[2:3]
	global_load_dwordx4 v[4:7], v[12:13], off
	global_load_dwordx4 v[8:11], v[14:15], off
	v_lshl_add_u64 v[12:13], s[8:9], 0, v[2:3]
	global_load_dwordx4 v[12:15], v[12:13], off
	v_lshl_add_u64 v[2:3], s[10:11], 0, v[2:3]
	global_load_dwordx4 v[16:19], v[2:3], off
	v_lshlrev_b32_e32 v40, 4, v21
	v_lshlrev_b32_e32 v60, 4, v20
	s_waitcnt vmcnt(3)
	ds_write2_b64 v1, v[4:5], v[6:7] offset1:1
	s_waitcnt vmcnt(2)
	ds_write2_b64 v1, v[8:9], v[10:11] offset0:18 offset1:19
	s_waitcnt vmcnt(1)
	ds_write2_b64 v1, v[12:13], v[14:15] offset0:36 offset1:37
	;; [unrolled: 2-line block ×3, first 2 shown]
	s_waitcnt lgkmcnt(0)
	; wave barrier
	ds_read_b128 v[4:7], v40 offset:144
	ds_read_b128 v[8:11], v1
	ds_read_b128 v[12:15], v1 offset:144
	ds_read_b128 v[16:19], v60 offset:160
	;; [unrolled: 1-line block ×7, first 2 shown]
	ds_read_b128 v[40:43], v40
	s_waitcnt lgkmcnt(9)
	v_mul_f64 v[44:45], v[6:7], v[6:7]
	s_waitcnt lgkmcnt(8)
	v_mul_f64 v[46:47], v[6:7], v[10:11]
	v_mul_f64 v[48:49], v[6:7], -v[8:9]
	s_waitcnt lgkmcnt(6)
	v_mul_f64 v[50:51], v[18:19], v[18:19]
	v_fmac_f64_e32 v[44:45], v[4:5], v[4:5]
	s_waitcnt lgkmcnt(2)
	v_mul_f64 v[52:53], v[18:19], v[34:35]
	v_mul_f64 v[18:19], v[18:19], -v[32:33]
	v_fmac_f64_e32 v[46:47], v[8:9], v[4:5]
	v_fmac_f64_e32 v[48:49], v[10:11], v[4:5]
	;; [unrolled: 1-line block ×3, first 2 shown]
	v_div_scale_f64 v[4:5], s[0:1], v[44:45], v[44:45], 1.0
	v_fmac_f64_e32 v[52:53], v[32:33], v[16:17]
	v_fmac_f64_e32 v[18:19], v[34:35], v[16:17]
	v_div_scale_f64 v[8:9], s[0:1], v[50:51], v[50:51], 1.0
	v_rcp_f64_e32 v[16:17], v[4:5]
	v_rcp_f64_e32 v[32:33], v[8:9]
	v_div_scale_f64 v[6:7], vcc, 1.0, v[44:45], 1.0
	v_fma_f64 v[34:35], -v[4:5], v[16:17], 1.0
	v_fma_f64 v[54:55], -v[8:9], v[32:33], 1.0
	v_fmac_f64_e32 v[16:17], v[16:17], v[34:35]
	v_fmac_f64_e32 v[32:33], v[32:33], v[54:55]
	v_fma_f64 v[34:35], -v[4:5], v[16:17], 1.0
	v_fma_f64 v[54:55], -v[8:9], v[32:33], 1.0
	v_fmac_f64_e32 v[16:17], v[16:17], v[34:35]
	v_div_scale_f64 v[10:11], s[0:1], 1.0, v[50:51], 1.0
	v_fmac_f64_e32 v[32:33], v[32:33], v[54:55]
	v_mul_f64 v[34:35], v[6:7], v[16:17]
	v_mul_f64 v[54:55], v[10:11], v[32:33]
	v_fma_f64 v[56:57], -v[4:5], v[34:35], v[6:7]
	v_fma_f64 v[58:59], -v[8:9], v[54:55], v[10:11]
	ds_read_b128 v[4:7], v60 offset:592
	ds_read_b128 v[8:11], v60 offset:304
	v_div_fmas_f64 v[16:17], v[56:57], v[16:17], v[34:35]
	s_mov_b64 vcc, s[0:1]
	v_div_fixup_f64 v[16:17], v[16:17], v[44:45], 1.0
	v_div_fmas_f64 v[32:33], v[58:59], v[32:33], v[54:55]
	v_mul_f64 v[34:35], v[16:17], v[46:47]
	v_mul_f64 v[16:17], v[16:17], v[48:49]
	v_div_fixup_f64 v[32:33], v[32:33], v[50:51], 1.0
	v_mul_f64 v[44:45], v[32:33], v[52:53]
	v_mul_f64 v[32:33], v[32:33], v[18:19]
	v_mul_f64 v[46:47], v[16:17], -v[26:27]
	v_mul_f64 v[48:49], v[16:17], v[24:25]
	v_mul_f64 v[50:51], v[16:17], -v[30:31]
	v_mul_f64 v[52:53], v[16:17], v[28:29]
	s_waitcnt lgkmcnt(2)
	v_mul_f64 v[18:19], v[16:17], v[42:43]
	v_mul_f64 v[54:55], v[16:17], -v[40:41]
	v_fmac_f64_e32 v[46:47], v[24:25], v[34:35]
	v_fmac_f64_e32 v[48:49], v[26:27], v[34:35]
	v_mul_f64 v[24:25], v[32:33], -v[22:23]
	v_mul_f64 v[26:27], v[32:33], v[20:21]
	v_fmac_f64_e32 v[50:51], v[28:29], v[34:35]
	v_fmac_f64_e32 v[52:53], v[30:31], v[34:35]
	s_waitcnt lgkmcnt(1)
	v_mul_f64 v[28:29], v[32:33], -v[6:7]
	v_mul_f64 v[30:31], v[32:33], v[4:5]
	v_fma_f64 v[16:17], -v[40:41], v[34:35], v[18:19]
	v_fma_f64 v[18:19], -v[42:43], v[34:35], v[54:55]
	s_waitcnt lgkmcnt(0)
	v_mul_f64 v[34:35], v[32:33], v[10:11]
	v_mul_f64 v[32:33], v[32:33], -v[8:9]
	v_add_f64 v[12:13], v[12:13], -v[46:47]
	v_add_f64 v[14:15], v[14:15], -v[48:49]
	v_fmac_f64_e32 v[24:25], v[20:21], v[44:45]
	v_fmac_f64_e32 v[26:27], v[22:23], v[44:45]
	v_add_f64 v[20:21], v[36:37], -v[50:51]
	v_add_f64 v[22:23], v[38:39], -v[52:53]
	v_fmac_f64_e32 v[28:29], v[4:5], v[44:45]
	v_fmac_f64_e32 v[30:31], v[6:7], v[44:45]
	v_fma_f64 v[4:5], -v[8:9], v[44:45], v[34:35]
	v_fma_f64 v[6:7], -v[10:11], v[44:45], v[32:33]
	v_add_f64 v[8:9], v[12:13], -v[24:25]
	v_add_f64 v[10:11], v[14:15], -v[26:27]
	;; [unrolled: 1-line block ×4, first 2 shown]
	; wave barrier
	ds_write_b128 v1, v[8:11] offset:144
	ds_write_b128 v1, v[12:15] offset:576
	ds_write_b128 v1, v[16:19]
	ds_write_b128 v1, v[4:7] offset:288
	v_sub_u32_e64 v4, v0, 2 clamp
	v_lshlrev_b32_e32 v40, 4, v4
	s_waitcnt lgkmcnt(0)
	; wave barrier
	ds_read_b128 v[4:7], v40 offset:144
	ds_read_b128 v[8:11], v40
	v_min_u32_e32 v26, 5, v0
	ds_read_b128 v[12:15], v1
	v_lshlrev_b32_e32 v41, 4, v26
	s_waitcnt lgkmcnt(2)
	v_mul_f64 v[16:17], v[6:7], v[6:7]
	v_fmac_f64_e32 v[16:17], v[4:5], v[4:5]
	v_div_scale_f64 v[18:19], s[0:1], v[16:17], v[16:17], 1.0
	v_rcp_f64_e32 v[20:21], v[18:19]
	s_nop 0
	v_fma_f64 v[22:23], -v[18:19], v[20:21], 1.0
	v_fmac_f64_e32 v[20:21], v[20:21], v[22:23]
	v_fma_f64 v[22:23], -v[18:19], v[20:21], 1.0
	v_fmac_f64_e32 v[20:21], v[20:21], v[22:23]
	v_div_scale_f64 v[22:23], vcc, 1.0, v[16:17], 1.0
	v_mul_f64 v[24:25], v[22:23], v[20:21]
	v_fma_f64 v[18:19], -v[18:19], v[24:25], v[22:23]
	s_nop 1
	v_div_fmas_f64 v[18:19], v[18:19], v[20:21], v[24:25]
	ds_read_b128 v[20:23], v41 offset:176
	v_div_fixup_f64 v[28:29], v[18:19], v[16:17], 1.0
	ds_read_b128 v[16:19], v1 offset:144
	s_waitcnt lgkmcnt(2)
	v_mul_f64 v[24:25], v[6:7], v[14:15]
	v_fmac_f64_e32 v[24:25], v[12:13], v[4:5]
	v_mul_f64 v[32:33], v[28:29], v[24:25]
	v_mul_f64 v[6:7], v[6:7], -v[12:13]
	ds_read_b128 v[24:27], v41 offset:32
	s_waitcnt lgkmcnt(2)
	v_mul_f64 v[12:13], v[22:23], v[22:23]
	v_fmac_f64_e32 v[12:13], v[20:21], v[20:21]
	v_div_scale_f64 v[30:31], s[0:1], v[12:13], v[12:13], 1.0
	v_rcp_f64_e32 v[34:35], v[30:31]
	v_fmac_f64_e32 v[6:7], v[14:15], v[4:5]
	v_mul_f64 v[36:37], v[28:29], v[6:7]
	ds_read_b128 v[4:7], v1 offset:288
	v_fma_f64 v[14:15], -v[30:31], v[34:35], 1.0
	v_fmac_f64_e32 v[34:35], v[34:35], v[14:15]
	v_fma_f64 v[14:15], -v[30:31], v[34:35], 1.0
	v_fmac_f64_e32 v[34:35], v[34:35], v[14:15]
	v_div_scale_f64 v[14:15], vcc, 1.0, v[12:13], 1.0
	v_mul_f64 v[28:29], v[14:15], v[34:35]
	v_fma_f64 v[14:15], -v[30:31], v[28:29], v[14:15]
	s_nop 1
	v_div_fmas_f64 v[14:15], v[14:15], v[34:35], v[28:29]
	v_div_fixup_f64 v[34:35], v[14:15], v[12:13], 1.0
	ds_read_b128 v[12:15], v1 offset:576
	s_waitcnt lgkmcnt(1)
	v_mul_f64 v[28:29], v[22:23], v[6:7]
	v_fmac_f64_e32 v[28:29], v[4:5], v[20:21]
	v_mul_f64 v[38:39], v[34:35], v[28:29]
	ds_read_b128 v[28:31], v40 offset:288
	v_mul_f64 v[4:5], v[22:23], -v[4:5]
	v_fmac_f64_e32 v[4:5], v[6:7], v[20:21]
	v_mul_f64 v[34:35], v[34:35], v[4:5]
	ds_read_b128 v[4:7], v40 offset:576
	s_waitcnt lgkmcnt(1)
	v_mul_f64 v[20:21], v[36:37], -v[30:31]
	v_mul_f64 v[22:23], v[36:37], v[28:29]
	v_fmac_f64_e32 v[20:21], v[28:29], v[32:33]
	v_fmac_f64_e32 v[22:23], v[30:31], v[32:33]
	v_add_f64 v[16:17], v[16:17], -v[20:21]
	v_add_f64 v[18:19], v[18:19], -v[22:23]
	v_mul_f64 v[20:21], v[34:35], -v[26:27]
	v_mul_f64 v[22:23], v[34:35], v[24:25]
	v_fmac_f64_e32 v[20:21], v[24:25], v[38:39]
	v_fmac_f64_e32 v[22:23], v[26:27], v[38:39]
	v_add_f64 v[16:17], v[16:17], -v[20:21]
	v_add_f64 v[18:19], v[18:19], -v[22:23]
	ds_read_b128 v[20:23], v41 offset:608
	s_waitcnt lgkmcnt(1)
	v_mul_f64 v[24:25], v[36:37], -v[6:7]
	v_fmac_f64_e32 v[24:25], v[4:5], v[32:33]
	v_mul_f64 v[4:5], v[36:37], v[4:5]
	v_fmac_f64_e32 v[4:5], v[6:7], v[32:33]
	v_add_f64 v[12:13], v[12:13], -v[24:25]
	v_add_f64 v[14:15], v[14:15], -v[4:5]
	ds_read_b128 v[4:7], v41 offset:320
	s_waitcnt lgkmcnt(1)
	v_mul_f64 v[24:25], v[34:35], -v[22:23]
	v_fmac_f64_e32 v[24:25], v[20:21], v[38:39]
	v_mul_f64 v[20:21], v[34:35], v[20:21]
	v_fmac_f64_e32 v[20:21], v[22:23], v[38:39]
	v_add_f64 v[14:15], v[14:15], -v[20:21]
	v_mul_f64 v[20:21], v[36:37], v[10:11]
	v_fma_f64 v[20:21], -v[8:9], v[32:33], v[20:21]
	v_mul_f64 v[8:9], v[36:37], -v[8:9]
	v_fma_f64 v[22:23], -v[10:11], v[32:33], v[8:9]
	s_waitcnt lgkmcnt(0)
	v_mul_f64 v[8:9], v[34:35], v[6:7]
	v_fma_f64 v[8:9], -v[4:5], v[38:39], v[8:9]
	v_mul_f64 v[4:5], v[34:35], -v[4:5]
	v_cmp_gt_u32_e32 vcc, 4, v0
	v_add_f64 v[12:13], v[12:13], -v[24:25]
	v_fma_f64 v[10:11], -v[6:7], v[38:39], v[4:5]
	; wave barrier
	ds_write_b128 v1, v[16:19] offset:144
	ds_write_b128 v1, v[12:15] offset:576
	ds_write_b128 v1, v[20:23]
	ds_write_b128 v1, v[8:11] offset:288
	s_waitcnt lgkmcnt(0)
	; wave barrier
	s_and_saveexec_b64 s[0:1], vcc
	s_cbranch_execz .LBB65_2
; %bb.1:
	v_add_u32_e32 v0, 0x90, v1
	ds_read_b128 v[4:7], v0
	ds_read_b128 v[8:11], v0 offset:64
	v_add_u32_e32 v0, 0x120, v1
	ds_read_b128 v[12:15], v1 offset:64
	ds_read_b128 v[16:19], v0
	v_add_u32_e32 v0, 0x240, v1
	s_waitcnt lgkmcnt(2)
	v_mul_f64 v[22:23], v[6:7], v[8:9]
	v_mul_f64 v[20:21], v[6:7], -v[10:11]
	s_waitcnt lgkmcnt(0)
	v_mul_f64 v[26:27], v[14:15], v[16:17]
	v_fmac_f64_e32 v[22:23], v[10:11], v[4:5]
	v_mul_f64 v[24:25], v[14:15], -v[18:19]
	v_fmac_f64_e32 v[26:27], v[18:19], v[12:13]
	v_fmac_f64_e32 v[20:21], v[8:9], v[4:5]
	;; [unrolled: 1-line block ×3, first 2 shown]
	v_add_f64 v[26:27], v[22:23], -v[26:27]
	v_add_f64 v[24:25], v[20:21], -v[24:25]
	v_mul_f64 v[20:21], v[26:27], v[26:27]
	v_fmac_f64_e32 v[20:21], v[24:25], v[24:25]
	v_div_scale_f64 v[22:23], s[2:3], v[20:21], v[20:21], 1.0
	v_rcp_f64_e32 v[28:29], v[22:23]
	s_nop 0
	v_fma_f64 v[30:31], -v[22:23], v[28:29], 1.0
	v_fmac_f64_e32 v[28:29], v[28:29], v[30:31]
	v_fma_f64 v[30:31], -v[22:23], v[28:29], 1.0
	v_fmac_f64_e32 v[28:29], v[28:29], v[30:31]
	v_div_scale_f64 v[30:31], vcc, 1.0, v[20:21], 1.0
	v_mul_f64 v[32:33], v[30:31], v[28:29]
	v_fma_f64 v[22:23], -v[22:23], v[32:33], v[30:31]
	v_fma_f64 v[30:31], 0, v[26:27], v[24:25]
	s_nop 0
	v_div_fmas_f64 v[22:23], v[22:23], v[28:29], v[32:33]
	v_div_fixup_f64 v[28:29], v[22:23], v[20:21], 1.0
	ds_read_b128 v[20:23], v0
	v_fma_f64 v[24:25], v[24:25], 0, -v[26:27]
	v_mul_f64 v[30:31], v[30:31], v[28:29]
	v_mul_f64 v[28:29], v[24:25], v[28:29]
	ds_read_b128 v[24:27], v0 offset:64
	s_waitcnt lgkmcnt(1)
	v_mul_f64 v[32:33], v[22:23], -v[10:11]
	v_fmac_f64_e32 v[32:33], v[8:9], v[20:21]
	v_mul_f64 v[8:9], v[8:9], v[22:23]
	v_fmac_f64_e32 v[8:9], v[10:11], v[20:21]
	s_waitcnt lgkmcnt(0)
	v_mul_f64 v[10:11], v[26:27], -v[18:19]
	v_fmac_f64_e32 v[10:11], v[16:17], v[24:25]
	v_mul_f64 v[16:17], v[16:17], v[26:27]
	v_fmac_f64_e32 v[16:17], v[18:19], v[24:25]
	v_add_f64 v[16:17], v[8:9], -v[16:17]
	v_add_f64 v[10:11], v[32:33], -v[10:11]
	v_mul_f64 v[8:9], v[28:29], -v[16:17]
	v_fmac_f64_e32 v[8:9], v[10:11], v[30:31]
	v_mul_f64 v[10:11], v[28:29], v[10:11]
	v_fmac_f64_e32 v[10:11], v[16:17], v[30:31]
	ds_write_b128 v1, v[8:11] offset:432
	v_mul_f64 v[8:9], v[6:7], -v[26:27]
	v_mul_f64 v[6:7], v[6:7], v[24:25]
	v_fmac_f64_e32 v[8:9], v[24:25], v[4:5]
	v_fmac_f64_e32 v[6:7], v[26:27], v[4:5]
	v_mul_f64 v[4:5], v[14:15], -v[22:23]
	v_mul_f64 v[10:11], v[14:15], v[20:21]
	v_fmac_f64_e32 v[4:5], v[20:21], v[12:13]
	v_fmac_f64_e32 v[10:11], v[22:23], v[12:13]
	v_add_f64 v[8:9], v[8:9], -v[4:5]
	v_add_f64 v[10:11], v[6:7], -v[10:11]
	v_mul_f64 v[4:5], v[28:29], -v[10:11]
	v_mul_f64 v[6:7], v[28:29], v[8:9]
	v_fmac_f64_e32 v[4:5], v[8:9], v[30:31]
	v_fmac_f64_e32 v[6:7], v[10:11], v[30:31]
	ds_write_b128 v1, v[4:7] offset:496
.LBB65_2:
	s_or_b64 exec, exec, s[0:1]
	s_waitcnt lgkmcnt(0)
	; wave barrier
	ds_read2_b64 v[4:7], v1 offset0:54 offset1:55
	s_waitcnt lgkmcnt(0)
	global_store_dwordx4 v[2:3], v[4:7], off
	s_endpgm
	.section	.rodata,"a",@progbits
	.p2align	6, 0x0
	.amdhsa_kernel _ZN9rocsparseL49gtsv_nopivot_strided_batch_pcr_pow2_shared_kernelILj8E21rocsparse_complex_numIdEEEviiiPKT0_S5_S5_PS3_
		.amdhsa_group_segment_fixed_size 720
		.amdhsa_private_segment_fixed_size 0
		.amdhsa_kernarg_size 48
		.amdhsa_user_sgpr_count 2
		.amdhsa_user_sgpr_dispatch_ptr 0
		.amdhsa_user_sgpr_queue_ptr 0
		.amdhsa_user_sgpr_kernarg_segment_ptr 1
		.amdhsa_user_sgpr_dispatch_id 0
		.amdhsa_user_sgpr_kernarg_preload_length 0
		.amdhsa_user_sgpr_kernarg_preload_offset 0
		.amdhsa_user_sgpr_private_segment_size 0
		.amdhsa_uses_dynamic_stack 0
		.amdhsa_enable_private_segment 0
		.amdhsa_system_sgpr_workgroup_id_x 1
		.amdhsa_system_sgpr_workgroup_id_y 0
		.amdhsa_system_sgpr_workgroup_id_z 0
		.amdhsa_system_sgpr_workgroup_info 0
		.amdhsa_system_vgpr_workitem_id 0
		.amdhsa_next_free_vgpr 61
		.amdhsa_next_free_sgpr 12
		.amdhsa_accum_offset 64
		.amdhsa_reserve_vcc 1
		.amdhsa_float_round_mode_32 0
		.amdhsa_float_round_mode_16_64 0
		.amdhsa_float_denorm_mode_32 3
		.amdhsa_float_denorm_mode_16_64 3
		.amdhsa_dx10_clamp 1
		.amdhsa_ieee_mode 1
		.amdhsa_fp16_overflow 0
		.amdhsa_tg_split 0
		.amdhsa_exception_fp_ieee_invalid_op 0
		.amdhsa_exception_fp_denorm_src 0
		.amdhsa_exception_fp_ieee_div_zero 0
		.amdhsa_exception_fp_ieee_overflow 0
		.amdhsa_exception_fp_ieee_underflow 0
		.amdhsa_exception_fp_ieee_inexact 0
		.amdhsa_exception_int_div_zero 0
	.end_amdhsa_kernel
	.section	.text._ZN9rocsparseL49gtsv_nopivot_strided_batch_pcr_pow2_shared_kernelILj8E21rocsparse_complex_numIdEEEviiiPKT0_S5_S5_PS3_,"axG",@progbits,_ZN9rocsparseL49gtsv_nopivot_strided_batch_pcr_pow2_shared_kernelILj8E21rocsparse_complex_numIdEEEviiiPKT0_S5_S5_PS3_,comdat
.Lfunc_end65:
	.size	_ZN9rocsparseL49gtsv_nopivot_strided_batch_pcr_pow2_shared_kernelILj8E21rocsparse_complex_numIdEEEviiiPKT0_S5_S5_PS3_, .Lfunc_end65-_ZN9rocsparseL49gtsv_nopivot_strided_batch_pcr_pow2_shared_kernelILj8E21rocsparse_complex_numIdEEEviiiPKT0_S5_S5_PS3_
                                        ; -- End function
	.set _ZN9rocsparseL49gtsv_nopivot_strided_batch_pcr_pow2_shared_kernelILj8E21rocsparse_complex_numIdEEEviiiPKT0_S5_S5_PS3_.num_vgpr, 61
	.set _ZN9rocsparseL49gtsv_nopivot_strided_batch_pcr_pow2_shared_kernelILj8E21rocsparse_complex_numIdEEEviiiPKT0_S5_S5_PS3_.num_agpr, 0
	.set _ZN9rocsparseL49gtsv_nopivot_strided_batch_pcr_pow2_shared_kernelILj8E21rocsparse_complex_numIdEEEviiiPKT0_S5_S5_PS3_.numbered_sgpr, 12
	.set _ZN9rocsparseL49gtsv_nopivot_strided_batch_pcr_pow2_shared_kernelILj8E21rocsparse_complex_numIdEEEviiiPKT0_S5_S5_PS3_.num_named_barrier, 0
	.set _ZN9rocsparseL49gtsv_nopivot_strided_batch_pcr_pow2_shared_kernelILj8E21rocsparse_complex_numIdEEEviiiPKT0_S5_S5_PS3_.private_seg_size, 0
	.set _ZN9rocsparseL49gtsv_nopivot_strided_batch_pcr_pow2_shared_kernelILj8E21rocsparse_complex_numIdEEEviiiPKT0_S5_S5_PS3_.uses_vcc, 1
	.set _ZN9rocsparseL49gtsv_nopivot_strided_batch_pcr_pow2_shared_kernelILj8E21rocsparse_complex_numIdEEEviiiPKT0_S5_S5_PS3_.uses_flat_scratch, 0
	.set _ZN9rocsparseL49gtsv_nopivot_strided_batch_pcr_pow2_shared_kernelILj8E21rocsparse_complex_numIdEEEviiiPKT0_S5_S5_PS3_.has_dyn_sized_stack, 0
	.set _ZN9rocsparseL49gtsv_nopivot_strided_batch_pcr_pow2_shared_kernelILj8E21rocsparse_complex_numIdEEEviiiPKT0_S5_S5_PS3_.has_recursion, 0
	.set _ZN9rocsparseL49gtsv_nopivot_strided_batch_pcr_pow2_shared_kernelILj8E21rocsparse_complex_numIdEEEviiiPKT0_S5_S5_PS3_.has_indirect_call, 0
	.section	.AMDGPU.csdata,"",@progbits
; Kernel info:
; codeLenInByte = 2016
; TotalNumSgprs: 18
; NumVgprs: 61
; NumAgprs: 0
; TotalNumVgprs: 61
; ScratchSize: 0
; MemoryBound: 0
; FloatMode: 240
; IeeeMode: 1
; LDSByteSize: 720 bytes/workgroup (compile time only)
; SGPRBlocks: 2
; VGPRBlocks: 7
; NumSGPRsForWavesPerEU: 18
; NumVGPRsForWavesPerEU: 61
; AccumOffset: 64
; Occupancy: 8
; WaveLimiterHint : 0
; COMPUTE_PGM_RSRC2:SCRATCH_EN: 0
; COMPUTE_PGM_RSRC2:USER_SGPR: 2
; COMPUTE_PGM_RSRC2:TRAP_HANDLER: 0
; COMPUTE_PGM_RSRC2:TGID_X_EN: 1
; COMPUTE_PGM_RSRC2:TGID_Y_EN: 0
; COMPUTE_PGM_RSRC2:TGID_Z_EN: 0
; COMPUTE_PGM_RSRC2:TIDIG_COMP_CNT: 0
; COMPUTE_PGM_RSRC3_GFX90A:ACCUM_OFFSET: 15
; COMPUTE_PGM_RSRC3_GFX90A:TG_SPLIT: 0
	.section	.text._ZN9rocsparseL49gtsv_nopivot_strided_batch_pcr_pow2_shared_kernelILj16E21rocsparse_complex_numIdEEEviiiPKT0_S5_S5_PS3_,"axG",@progbits,_ZN9rocsparseL49gtsv_nopivot_strided_batch_pcr_pow2_shared_kernelILj16E21rocsparse_complex_numIdEEEviiiPKT0_S5_S5_PS3_,comdat
	.globl	_ZN9rocsparseL49gtsv_nopivot_strided_batch_pcr_pow2_shared_kernelILj16E21rocsparse_complex_numIdEEEviiiPKT0_S5_S5_PS3_ ; -- Begin function _ZN9rocsparseL49gtsv_nopivot_strided_batch_pcr_pow2_shared_kernelILj16E21rocsparse_complex_numIdEEEviiiPKT0_S5_S5_PS3_
	.p2align	8
	.type	_ZN9rocsparseL49gtsv_nopivot_strided_batch_pcr_pow2_shared_kernelILj16E21rocsparse_complex_numIdEEEviiiPKT0_S5_S5_PS3_,@function
_ZN9rocsparseL49gtsv_nopivot_strided_batch_pcr_pow2_shared_kernelILj16E21rocsparse_complex_numIdEEEviiiPKT0_S5_S5_PS3_: ; @_ZN9rocsparseL49gtsv_nopivot_strided_batch_pcr_pow2_shared_kernelILj16E21rocsparse_complex_numIdEEEviiiPKT0_S5_S5_PS3_
; %bb.0:
	s_load_dword s3, s[0:1], 0x8
	s_load_dwordx8 s[4:11], s[0:1], 0x10
	v_sub_u32_e64 v21, v0, 1 clamp
	v_lshlrev_b32_e32 v1, 4, v0
	v_min_u32_e32 v20, 14, v0
	s_waitcnt lgkmcnt(0)
	s_mul_i32 s3, s3, s2
	v_add_u32_e32 v2, s3, v0
	v_ashrrev_i32_e32 v3, 31, v2
	v_lshlrev_b64 v[2:3], 4, v[2:3]
	v_lshl_add_u64 v[12:13], s[4:5], 0, v[2:3]
	v_lshl_add_u64 v[14:15], s[6:7], 0, v[2:3]
	global_load_dwordx4 v[4:7], v[12:13], off
	global_load_dwordx4 v[8:11], v[14:15], off
	v_lshl_add_u64 v[12:13], s[8:9], 0, v[2:3]
	global_load_dwordx4 v[12:15], v[12:13], off
	v_lshl_add_u64 v[2:3], s[10:11], 0, v[2:3]
	global_load_dwordx4 v[16:19], v[2:3], off
	v_lshlrev_b32_e32 v40, 4, v21
	v_lshlrev_b32_e32 v60, 4, v20
	s_waitcnt vmcnt(3)
	ds_write2_b64 v1, v[4:5], v[6:7] offset1:1
	s_waitcnt vmcnt(2)
	ds_write2_b64 v1, v[8:9], v[10:11] offset0:34 offset1:35
	s_waitcnt vmcnt(1)
	ds_write2_b64 v1, v[12:13], v[14:15] offset0:68 offset1:69
	;; [unrolled: 2-line block ×3, first 2 shown]
	s_waitcnt lgkmcnt(0)
	; wave barrier
	ds_read_b128 v[4:7], v40 offset:272
	ds_read_b128 v[8:11], v1
	ds_read_b128 v[12:15], v1 offset:272
	ds_read_b128 v[16:19], v60 offset:288
	;; [unrolled: 1-line block ×7, first 2 shown]
	ds_read_b128 v[40:43], v40
	s_waitcnt lgkmcnt(9)
	v_mul_f64 v[44:45], v[6:7], v[6:7]
	s_waitcnt lgkmcnt(8)
	v_mul_f64 v[46:47], v[6:7], v[10:11]
	v_mul_f64 v[48:49], v[6:7], -v[8:9]
	s_waitcnt lgkmcnt(6)
	v_mul_f64 v[50:51], v[18:19], v[18:19]
	v_fmac_f64_e32 v[44:45], v[4:5], v[4:5]
	s_waitcnt lgkmcnt(2)
	v_mul_f64 v[52:53], v[18:19], v[34:35]
	v_mul_f64 v[18:19], v[18:19], -v[32:33]
	v_fmac_f64_e32 v[46:47], v[8:9], v[4:5]
	v_fmac_f64_e32 v[48:49], v[10:11], v[4:5]
	;; [unrolled: 1-line block ×3, first 2 shown]
	v_div_scale_f64 v[4:5], s[0:1], v[44:45], v[44:45], 1.0
	v_fmac_f64_e32 v[52:53], v[32:33], v[16:17]
	v_fmac_f64_e32 v[18:19], v[34:35], v[16:17]
	v_div_scale_f64 v[8:9], s[0:1], v[50:51], v[50:51], 1.0
	v_rcp_f64_e32 v[16:17], v[4:5]
	v_rcp_f64_e32 v[32:33], v[8:9]
	v_div_scale_f64 v[6:7], vcc, 1.0, v[44:45], 1.0
	v_fma_f64 v[34:35], -v[4:5], v[16:17], 1.0
	v_fma_f64 v[54:55], -v[8:9], v[32:33], 1.0
	v_fmac_f64_e32 v[16:17], v[16:17], v[34:35]
	v_fmac_f64_e32 v[32:33], v[32:33], v[54:55]
	v_fma_f64 v[34:35], -v[4:5], v[16:17], 1.0
	v_fma_f64 v[54:55], -v[8:9], v[32:33], 1.0
	v_fmac_f64_e32 v[16:17], v[16:17], v[34:35]
	v_div_scale_f64 v[10:11], s[0:1], 1.0, v[50:51], 1.0
	v_fmac_f64_e32 v[32:33], v[32:33], v[54:55]
	v_mul_f64 v[34:35], v[6:7], v[16:17]
	v_mul_f64 v[54:55], v[10:11], v[32:33]
	v_fma_f64 v[56:57], -v[4:5], v[34:35], v[6:7]
	v_fma_f64 v[58:59], -v[8:9], v[54:55], v[10:11]
	ds_read_b128 v[4:7], v60 offset:1104
	ds_read_b128 v[8:11], v60 offset:560
	v_div_fmas_f64 v[16:17], v[56:57], v[16:17], v[34:35]
	s_mov_b64 vcc, s[0:1]
	v_div_fixup_f64 v[16:17], v[16:17], v[44:45], 1.0
	v_div_fmas_f64 v[32:33], v[58:59], v[32:33], v[54:55]
	v_mul_f64 v[34:35], v[16:17], v[46:47]
	v_mul_f64 v[16:17], v[16:17], v[48:49]
	v_div_fixup_f64 v[32:33], v[32:33], v[50:51], 1.0
	v_mul_f64 v[44:45], v[32:33], v[52:53]
	v_mul_f64 v[32:33], v[32:33], v[18:19]
	v_mul_f64 v[46:47], v[16:17], -v[26:27]
	v_mul_f64 v[48:49], v[16:17], v[24:25]
	v_mul_f64 v[50:51], v[16:17], -v[30:31]
	v_mul_f64 v[52:53], v[16:17], v[28:29]
	s_waitcnt lgkmcnt(2)
	v_mul_f64 v[18:19], v[16:17], v[42:43]
	v_mul_f64 v[54:55], v[16:17], -v[40:41]
	v_fmac_f64_e32 v[46:47], v[24:25], v[34:35]
	v_fmac_f64_e32 v[48:49], v[26:27], v[34:35]
	v_mul_f64 v[24:25], v[32:33], -v[22:23]
	v_mul_f64 v[26:27], v[32:33], v[20:21]
	v_fmac_f64_e32 v[50:51], v[28:29], v[34:35]
	v_fmac_f64_e32 v[52:53], v[30:31], v[34:35]
	s_waitcnt lgkmcnt(1)
	v_mul_f64 v[28:29], v[32:33], -v[6:7]
	v_mul_f64 v[30:31], v[32:33], v[4:5]
	v_fma_f64 v[16:17], -v[40:41], v[34:35], v[18:19]
	v_fma_f64 v[18:19], -v[42:43], v[34:35], v[54:55]
	s_waitcnt lgkmcnt(0)
	v_mul_f64 v[34:35], v[32:33], v[10:11]
	v_mul_f64 v[32:33], v[32:33], -v[8:9]
	v_add_f64 v[12:13], v[12:13], -v[46:47]
	v_add_f64 v[14:15], v[14:15], -v[48:49]
	v_fmac_f64_e32 v[24:25], v[20:21], v[44:45]
	v_fmac_f64_e32 v[26:27], v[22:23], v[44:45]
	v_add_f64 v[20:21], v[36:37], -v[50:51]
	v_add_f64 v[22:23], v[38:39], -v[52:53]
	v_fmac_f64_e32 v[28:29], v[4:5], v[44:45]
	v_fmac_f64_e32 v[30:31], v[6:7], v[44:45]
	v_fma_f64 v[4:5], -v[8:9], v[44:45], v[34:35]
	v_fma_f64 v[6:7], -v[10:11], v[44:45], v[32:33]
	v_add_f64 v[8:9], v[12:13], -v[24:25]
	v_add_f64 v[10:11], v[14:15], -v[26:27]
	;; [unrolled: 1-line block ×4, first 2 shown]
	; wave barrier
	ds_write_b128 v1, v[8:11] offset:272
	ds_write_b128 v1, v[12:15] offset:1088
	ds_write_b128 v1, v[16:19]
	ds_write_b128 v1, v[4:7] offset:544
	v_sub_u32_e64 v4, v0, 2 clamp
	v_lshlrev_b32_e32 v40, 4, v4
	s_waitcnt lgkmcnt(0)
	; wave barrier
	ds_read_b128 v[4:7], v40 offset:272
	ds_read_b128 v[8:11], v40
	v_min_u32_e32 v26, 13, v0
	ds_read_b128 v[12:15], v1
	v_lshlrev_b32_e32 v41, 4, v26
	s_waitcnt lgkmcnt(2)
	v_mul_f64 v[16:17], v[6:7], v[6:7]
	v_fmac_f64_e32 v[16:17], v[4:5], v[4:5]
	v_div_scale_f64 v[18:19], s[0:1], v[16:17], v[16:17], 1.0
	v_rcp_f64_e32 v[20:21], v[18:19]
	s_nop 0
	v_fma_f64 v[22:23], -v[18:19], v[20:21], 1.0
	v_fmac_f64_e32 v[20:21], v[20:21], v[22:23]
	v_fma_f64 v[22:23], -v[18:19], v[20:21], 1.0
	v_fmac_f64_e32 v[20:21], v[20:21], v[22:23]
	v_div_scale_f64 v[22:23], vcc, 1.0, v[16:17], 1.0
	v_mul_f64 v[24:25], v[22:23], v[20:21]
	v_fma_f64 v[18:19], -v[18:19], v[24:25], v[22:23]
	s_nop 1
	v_div_fmas_f64 v[18:19], v[18:19], v[20:21], v[24:25]
	ds_read_b128 v[20:23], v41 offset:304
	v_div_fixup_f64 v[28:29], v[18:19], v[16:17], 1.0
	ds_read_b128 v[16:19], v1 offset:272
	s_waitcnt lgkmcnt(2)
	v_mul_f64 v[24:25], v[6:7], v[14:15]
	v_fmac_f64_e32 v[24:25], v[12:13], v[4:5]
	v_mul_f64 v[32:33], v[28:29], v[24:25]
	v_mul_f64 v[6:7], v[6:7], -v[12:13]
	ds_read_b128 v[24:27], v41 offset:32
	s_waitcnt lgkmcnt(2)
	v_mul_f64 v[12:13], v[22:23], v[22:23]
	v_fmac_f64_e32 v[12:13], v[20:21], v[20:21]
	v_div_scale_f64 v[30:31], s[0:1], v[12:13], v[12:13], 1.0
	v_rcp_f64_e32 v[34:35], v[30:31]
	v_fmac_f64_e32 v[6:7], v[14:15], v[4:5]
	v_mul_f64 v[36:37], v[28:29], v[6:7]
	ds_read_b128 v[4:7], v1 offset:544
	v_fma_f64 v[14:15], -v[30:31], v[34:35], 1.0
	v_fmac_f64_e32 v[34:35], v[34:35], v[14:15]
	v_fma_f64 v[14:15], -v[30:31], v[34:35], 1.0
	v_fmac_f64_e32 v[34:35], v[34:35], v[14:15]
	v_div_scale_f64 v[14:15], vcc, 1.0, v[12:13], 1.0
	v_mul_f64 v[28:29], v[14:15], v[34:35]
	v_fma_f64 v[14:15], -v[30:31], v[28:29], v[14:15]
	s_nop 1
	v_div_fmas_f64 v[14:15], v[14:15], v[34:35], v[28:29]
	v_div_fixup_f64 v[34:35], v[14:15], v[12:13], 1.0
	ds_read_b128 v[12:15], v1 offset:1088
	s_waitcnt lgkmcnt(1)
	v_mul_f64 v[28:29], v[22:23], v[6:7]
	v_fmac_f64_e32 v[28:29], v[4:5], v[20:21]
	v_mul_f64 v[38:39], v[34:35], v[28:29]
	ds_read_b128 v[28:31], v40 offset:544
	v_mul_f64 v[4:5], v[22:23], -v[4:5]
	v_fmac_f64_e32 v[4:5], v[6:7], v[20:21]
	v_mul_f64 v[34:35], v[34:35], v[4:5]
	ds_read_b128 v[4:7], v40 offset:1088
	s_waitcnt lgkmcnt(1)
	v_mul_f64 v[20:21], v[36:37], -v[30:31]
	v_mul_f64 v[22:23], v[36:37], v[28:29]
	v_fmac_f64_e32 v[20:21], v[28:29], v[32:33]
	v_fmac_f64_e32 v[22:23], v[30:31], v[32:33]
	v_add_f64 v[16:17], v[16:17], -v[20:21]
	v_add_f64 v[18:19], v[18:19], -v[22:23]
	v_mul_f64 v[20:21], v[34:35], -v[26:27]
	v_mul_f64 v[22:23], v[34:35], v[24:25]
	v_fmac_f64_e32 v[20:21], v[24:25], v[38:39]
	v_fmac_f64_e32 v[22:23], v[26:27], v[38:39]
	v_add_f64 v[16:17], v[16:17], -v[20:21]
	v_add_f64 v[18:19], v[18:19], -v[22:23]
	ds_read_b128 v[20:23], v41 offset:1120
	s_waitcnt lgkmcnt(1)
	v_mul_f64 v[24:25], v[36:37], -v[6:7]
	v_fmac_f64_e32 v[24:25], v[4:5], v[32:33]
	v_mul_f64 v[4:5], v[36:37], v[4:5]
	v_fmac_f64_e32 v[4:5], v[6:7], v[32:33]
	v_add_f64 v[12:13], v[12:13], -v[24:25]
	v_add_f64 v[14:15], v[14:15], -v[4:5]
	ds_read_b128 v[4:7], v41 offset:576
	s_waitcnt lgkmcnt(1)
	v_mul_f64 v[24:25], v[34:35], -v[22:23]
	v_fmac_f64_e32 v[24:25], v[20:21], v[38:39]
	v_mul_f64 v[20:21], v[34:35], v[20:21]
	v_fmac_f64_e32 v[20:21], v[22:23], v[38:39]
	v_add_f64 v[14:15], v[14:15], -v[20:21]
	v_mul_f64 v[20:21], v[36:37], v[10:11]
	v_fma_f64 v[20:21], -v[8:9], v[32:33], v[20:21]
	v_mul_f64 v[8:9], v[36:37], -v[8:9]
	v_fma_f64 v[22:23], -v[10:11], v[32:33], v[8:9]
	s_waitcnt lgkmcnt(0)
	v_mul_f64 v[8:9], v[34:35], v[6:7]
	v_fma_f64 v[8:9], -v[4:5], v[38:39], v[8:9]
	v_mul_f64 v[4:5], v[34:35], -v[4:5]
	v_fma_f64 v[10:11], -v[6:7], v[38:39], v[4:5]
	v_sub_u32_e64 v4, v0, 4 clamp
	v_lshlrev_b32_e32 v40, 4, v4
	v_add_f64 v[12:13], v[12:13], -v[24:25]
	; wave barrier
	ds_write_b128 v1, v[16:19] offset:272
	ds_write_b128 v1, v[12:15] offset:1088
	ds_write_b128 v1, v[20:23]
	ds_write_b128 v1, v[8:11] offset:544
	s_waitcnt lgkmcnt(0)
	; wave barrier
	ds_read_b128 v[4:7], v40 offset:272
	ds_read_b128 v[8:11], v40
	v_min_u32_e32 v26, 11, v0
	ds_read_b128 v[12:15], v1
	v_lshlrev_b32_e32 v41, 4, v26
	s_waitcnt lgkmcnt(2)
	v_mul_f64 v[16:17], v[6:7], v[6:7]
	v_fmac_f64_e32 v[16:17], v[4:5], v[4:5]
	v_div_scale_f64 v[18:19], s[0:1], v[16:17], v[16:17], 1.0
	v_rcp_f64_e32 v[20:21], v[18:19]
	s_nop 0
	v_fma_f64 v[22:23], -v[18:19], v[20:21], 1.0
	v_fmac_f64_e32 v[20:21], v[20:21], v[22:23]
	v_fma_f64 v[22:23], -v[18:19], v[20:21], 1.0
	v_fmac_f64_e32 v[20:21], v[20:21], v[22:23]
	v_div_scale_f64 v[22:23], vcc, 1.0, v[16:17], 1.0
	v_mul_f64 v[24:25], v[22:23], v[20:21]
	v_fma_f64 v[18:19], -v[18:19], v[24:25], v[22:23]
	s_nop 1
	v_div_fmas_f64 v[18:19], v[18:19], v[20:21], v[24:25]
	ds_read_b128 v[20:23], v41 offset:336
	v_div_fixup_f64 v[28:29], v[18:19], v[16:17], 1.0
	ds_read_b128 v[16:19], v1 offset:272
	s_waitcnt lgkmcnt(2)
	v_mul_f64 v[24:25], v[6:7], v[14:15]
	v_fmac_f64_e32 v[24:25], v[12:13], v[4:5]
	v_mul_f64 v[32:33], v[28:29], v[24:25]
	v_mul_f64 v[6:7], v[6:7], -v[12:13]
	ds_read_b128 v[24:27], v41 offset:64
	s_waitcnt lgkmcnt(2)
	v_mul_f64 v[12:13], v[22:23], v[22:23]
	v_fmac_f64_e32 v[12:13], v[20:21], v[20:21]
	v_div_scale_f64 v[30:31], s[0:1], v[12:13], v[12:13], 1.0
	v_rcp_f64_e32 v[34:35], v[30:31]
	v_fmac_f64_e32 v[6:7], v[14:15], v[4:5]
	v_mul_f64 v[36:37], v[28:29], v[6:7]
	ds_read_b128 v[4:7], v1 offset:544
	v_fma_f64 v[14:15], -v[30:31], v[34:35], 1.0
	v_fmac_f64_e32 v[34:35], v[34:35], v[14:15]
	v_fma_f64 v[14:15], -v[30:31], v[34:35], 1.0
	v_fmac_f64_e32 v[34:35], v[34:35], v[14:15]
	v_div_scale_f64 v[14:15], vcc, 1.0, v[12:13], 1.0
	v_mul_f64 v[28:29], v[14:15], v[34:35]
	v_fma_f64 v[14:15], -v[30:31], v[28:29], v[14:15]
	s_nop 1
	v_div_fmas_f64 v[14:15], v[14:15], v[34:35], v[28:29]
	v_div_fixup_f64 v[34:35], v[14:15], v[12:13], 1.0
	ds_read_b128 v[12:15], v1 offset:1088
	s_waitcnt lgkmcnt(1)
	v_mul_f64 v[28:29], v[22:23], v[6:7]
	v_fmac_f64_e32 v[28:29], v[4:5], v[20:21]
	v_mul_f64 v[38:39], v[34:35], v[28:29]
	ds_read_b128 v[28:31], v40 offset:544
	v_mul_f64 v[4:5], v[22:23], -v[4:5]
	v_fmac_f64_e32 v[4:5], v[6:7], v[20:21]
	v_mul_f64 v[34:35], v[34:35], v[4:5]
	ds_read_b128 v[4:7], v40 offset:1088
	s_waitcnt lgkmcnt(1)
	v_mul_f64 v[20:21], v[36:37], -v[30:31]
	v_mul_f64 v[22:23], v[36:37], v[28:29]
	v_fmac_f64_e32 v[20:21], v[28:29], v[32:33]
	v_fmac_f64_e32 v[22:23], v[30:31], v[32:33]
	v_add_f64 v[16:17], v[16:17], -v[20:21]
	v_add_f64 v[18:19], v[18:19], -v[22:23]
	v_mul_f64 v[20:21], v[34:35], -v[26:27]
	v_mul_f64 v[22:23], v[34:35], v[24:25]
	v_fmac_f64_e32 v[20:21], v[24:25], v[38:39]
	v_fmac_f64_e32 v[22:23], v[26:27], v[38:39]
	v_add_f64 v[16:17], v[16:17], -v[20:21]
	v_add_f64 v[18:19], v[18:19], -v[22:23]
	ds_read_b128 v[20:23], v41 offset:1152
	s_waitcnt lgkmcnt(1)
	v_mul_f64 v[24:25], v[36:37], -v[6:7]
	v_fmac_f64_e32 v[24:25], v[4:5], v[32:33]
	v_mul_f64 v[4:5], v[36:37], v[4:5]
	v_fmac_f64_e32 v[4:5], v[6:7], v[32:33]
	v_add_f64 v[12:13], v[12:13], -v[24:25]
	v_add_f64 v[14:15], v[14:15], -v[4:5]
	ds_read_b128 v[4:7], v41 offset:608
	s_waitcnt lgkmcnt(1)
	v_mul_f64 v[24:25], v[34:35], -v[22:23]
	v_fmac_f64_e32 v[24:25], v[20:21], v[38:39]
	v_mul_f64 v[20:21], v[34:35], v[20:21]
	v_fmac_f64_e32 v[20:21], v[22:23], v[38:39]
	v_add_f64 v[14:15], v[14:15], -v[20:21]
	v_mul_f64 v[20:21], v[36:37], v[10:11]
	v_fma_f64 v[20:21], -v[8:9], v[32:33], v[20:21]
	v_mul_f64 v[8:9], v[36:37], -v[8:9]
	v_fma_f64 v[22:23], -v[10:11], v[32:33], v[8:9]
	s_waitcnt lgkmcnt(0)
	v_mul_f64 v[8:9], v[34:35], v[6:7]
	v_fma_f64 v[8:9], -v[4:5], v[38:39], v[8:9]
	v_mul_f64 v[4:5], v[34:35], -v[4:5]
	v_cmp_gt_u32_e32 vcc, 8, v0
	v_add_f64 v[12:13], v[12:13], -v[24:25]
	v_fma_f64 v[10:11], -v[6:7], v[38:39], v[4:5]
	; wave barrier
	ds_write_b128 v1, v[16:19] offset:272
	ds_write_b128 v1, v[12:15] offset:1088
	ds_write_b128 v1, v[20:23]
	ds_write_b128 v1, v[8:11] offset:544
	s_waitcnt lgkmcnt(0)
	; wave barrier
	s_and_saveexec_b64 s[0:1], vcc
	s_cbranch_execz .LBB66_2
; %bb.1:
	v_add_u32_e32 v0, 0x110, v1
	ds_read_b128 v[4:7], v0
	ds_read_b128 v[8:11], v0 offset:128
	v_add_u32_e32 v0, 0x220, v1
	ds_read_b128 v[12:15], v1 offset:128
	ds_read_b128 v[16:19], v0
	v_add_u32_e32 v0, 0x440, v1
	s_waitcnt lgkmcnt(2)
	v_mul_f64 v[22:23], v[6:7], v[8:9]
	v_mul_f64 v[20:21], v[6:7], -v[10:11]
	s_waitcnt lgkmcnt(0)
	v_mul_f64 v[26:27], v[14:15], v[16:17]
	v_fmac_f64_e32 v[22:23], v[10:11], v[4:5]
	v_mul_f64 v[24:25], v[14:15], -v[18:19]
	v_fmac_f64_e32 v[26:27], v[18:19], v[12:13]
	v_fmac_f64_e32 v[20:21], v[8:9], v[4:5]
	v_fmac_f64_e32 v[24:25], v[16:17], v[12:13]
	v_add_f64 v[26:27], v[22:23], -v[26:27]
	v_add_f64 v[24:25], v[20:21], -v[24:25]
	v_mul_f64 v[20:21], v[26:27], v[26:27]
	v_fmac_f64_e32 v[20:21], v[24:25], v[24:25]
	v_div_scale_f64 v[22:23], s[2:3], v[20:21], v[20:21], 1.0
	v_rcp_f64_e32 v[28:29], v[22:23]
	s_nop 0
	v_fma_f64 v[30:31], -v[22:23], v[28:29], 1.0
	v_fmac_f64_e32 v[28:29], v[28:29], v[30:31]
	v_fma_f64 v[30:31], -v[22:23], v[28:29], 1.0
	v_fmac_f64_e32 v[28:29], v[28:29], v[30:31]
	v_div_scale_f64 v[30:31], vcc, 1.0, v[20:21], 1.0
	v_mul_f64 v[32:33], v[30:31], v[28:29]
	v_fma_f64 v[22:23], -v[22:23], v[32:33], v[30:31]
	v_fma_f64 v[30:31], 0, v[26:27], v[24:25]
	s_nop 0
	v_div_fmas_f64 v[22:23], v[22:23], v[28:29], v[32:33]
	v_div_fixup_f64 v[28:29], v[22:23], v[20:21], 1.0
	ds_read_b128 v[20:23], v0
	v_fma_f64 v[24:25], v[24:25], 0, -v[26:27]
	v_mul_f64 v[30:31], v[30:31], v[28:29]
	v_mul_f64 v[28:29], v[24:25], v[28:29]
	ds_read_b128 v[24:27], v0 offset:128
	s_waitcnt lgkmcnt(1)
	v_mul_f64 v[32:33], v[22:23], -v[10:11]
	v_fmac_f64_e32 v[32:33], v[8:9], v[20:21]
	v_mul_f64 v[8:9], v[8:9], v[22:23]
	v_fmac_f64_e32 v[8:9], v[10:11], v[20:21]
	s_waitcnt lgkmcnt(0)
	v_mul_f64 v[10:11], v[26:27], -v[18:19]
	v_fmac_f64_e32 v[10:11], v[16:17], v[24:25]
	v_mul_f64 v[16:17], v[16:17], v[26:27]
	v_fmac_f64_e32 v[16:17], v[18:19], v[24:25]
	v_add_f64 v[16:17], v[8:9], -v[16:17]
	v_add_f64 v[10:11], v[32:33], -v[10:11]
	v_mul_f64 v[8:9], v[28:29], -v[16:17]
	v_fmac_f64_e32 v[8:9], v[10:11], v[30:31]
	v_mul_f64 v[10:11], v[28:29], v[10:11]
	v_fmac_f64_e32 v[10:11], v[16:17], v[30:31]
	ds_write_b128 v1, v[8:11] offset:816
	v_mul_f64 v[8:9], v[6:7], -v[26:27]
	v_mul_f64 v[6:7], v[6:7], v[24:25]
	v_fmac_f64_e32 v[8:9], v[24:25], v[4:5]
	v_fmac_f64_e32 v[6:7], v[26:27], v[4:5]
	v_mul_f64 v[4:5], v[14:15], -v[22:23]
	v_mul_f64 v[10:11], v[14:15], v[20:21]
	v_fmac_f64_e32 v[4:5], v[20:21], v[12:13]
	v_fmac_f64_e32 v[10:11], v[22:23], v[12:13]
	v_add_f64 v[8:9], v[8:9], -v[4:5]
	v_add_f64 v[10:11], v[6:7], -v[10:11]
	v_mul_f64 v[4:5], v[28:29], -v[10:11]
	v_mul_f64 v[6:7], v[28:29], v[8:9]
	v_fmac_f64_e32 v[4:5], v[8:9], v[30:31]
	v_fmac_f64_e32 v[6:7], v[10:11], v[30:31]
	ds_write_b128 v1, v[4:7] offset:944
.LBB66_2:
	s_or_b64 exec, exec, s[0:1]
	s_waitcnt lgkmcnt(0)
	; wave barrier
	ds_read2_b64 v[4:7], v1 offset0:102 offset1:103
	s_waitcnt lgkmcnt(0)
	global_store_dwordx4 v[2:3], v[4:7], off
	s_endpgm
	.section	.rodata,"a",@progbits
	.p2align	6, 0x0
	.amdhsa_kernel _ZN9rocsparseL49gtsv_nopivot_strided_batch_pcr_pow2_shared_kernelILj16E21rocsparse_complex_numIdEEEviiiPKT0_S5_S5_PS3_
		.amdhsa_group_segment_fixed_size 1360
		.amdhsa_private_segment_fixed_size 0
		.amdhsa_kernarg_size 48
		.amdhsa_user_sgpr_count 2
		.amdhsa_user_sgpr_dispatch_ptr 0
		.amdhsa_user_sgpr_queue_ptr 0
		.amdhsa_user_sgpr_kernarg_segment_ptr 1
		.amdhsa_user_sgpr_dispatch_id 0
		.amdhsa_user_sgpr_kernarg_preload_length 0
		.amdhsa_user_sgpr_kernarg_preload_offset 0
		.amdhsa_user_sgpr_private_segment_size 0
		.amdhsa_uses_dynamic_stack 0
		.amdhsa_enable_private_segment 0
		.amdhsa_system_sgpr_workgroup_id_x 1
		.amdhsa_system_sgpr_workgroup_id_y 0
		.amdhsa_system_sgpr_workgroup_id_z 0
		.amdhsa_system_sgpr_workgroup_info 0
		.amdhsa_system_vgpr_workitem_id 0
		.amdhsa_next_free_vgpr 61
		.amdhsa_next_free_sgpr 12
		.amdhsa_accum_offset 64
		.amdhsa_reserve_vcc 1
		.amdhsa_float_round_mode_32 0
		.amdhsa_float_round_mode_16_64 0
		.amdhsa_float_denorm_mode_32 3
		.amdhsa_float_denorm_mode_16_64 3
		.amdhsa_dx10_clamp 1
		.amdhsa_ieee_mode 1
		.amdhsa_fp16_overflow 0
		.amdhsa_tg_split 0
		.amdhsa_exception_fp_ieee_invalid_op 0
		.amdhsa_exception_fp_denorm_src 0
		.amdhsa_exception_fp_ieee_div_zero 0
		.amdhsa_exception_fp_ieee_overflow 0
		.amdhsa_exception_fp_ieee_underflow 0
		.amdhsa_exception_fp_ieee_inexact 0
		.amdhsa_exception_int_div_zero 0
	.end_amdhsa_kernel
	.section	.text._ZN9rocsparseL49gtsv_nopivot_strided_batch_pcr_pow2_shared_kernelILj16E21rocsparse_complex_numIdEEEviiiPKT0_S5_S5_PS3_,"axG",@progbits,_ZN9rocsparseL49gtsv_nopivot_strided_batch_pcr_pow2_shared_kernelILj16E21rocsparse_complex_numIdEEEviiiPKT0_S5_S5_PS3_,comdat
.Lfunc_end66:
	.size	_ZN9rocsparseL49gtsv_nopivot_strided_batch_pcr_pow2_shared_kernelILj16E21rocsparse_complex_numIdEEEviiiPKT0_S5_S5_PS3_, .Lfunc_end66-_ZN9rocsparseL49gtsv_nopivot_strided_batch_pcr_pow2_shared_kernelILj16E21rocsparse_complex_numIdEEEviiiPKT0_S5_S5_PS3_
                                        ; -- End function
	.set _ZN9rocsparseL49gtsv_nopivot_strided_batch_pcr_pow2_shared_kernelILj16E21rocsparse_complex_numIdEEEviiiPKT0_S5_S5_PS3_.num_vgpr, 61
	.set _ZN9rocsparseL49gtsv_nopivot_strided_batch_pcr_pow2_shared_kernelILj16E21rocsparse_complex_numIdEEEviiiPKT0_S5_S5_PS3_.num_agpr, 0
	.set _ZN9rocsparseL49gtsv_nopivot_strided_batch_pcr_pow2_shared_kernelILj16E21rocsparse_complex_numIdEEEviiiPKT0_S5_S5_PS3_.numbered_sgpr, 12
	.set _ZN9rocsparseL49gtsv_nopivot_strided_batch_pcr_pow2_shared_kernelILj16E21rocsparse_complex_numIdEEEviiiPKT0_S5_S5_PS3_.num_named_barrier, 0
	.set _ZN9rocsparseL49gtsv_nopivot_strided_batch_pcr_pow2_shared_kernelILj16E21rocsparse_complex_numIdEEEviiiPKT0_S5_S5_PS3_.private_seg_size, 0
	.set _ZN9rocsparseL49gtsv_nopivot_strided_batch_pcr_pow2_shared_kernelILj16E21rocsparse_complex_numIdEEEviiiPKT0_S5_S5_PS3_.uses_vcc, 1
	.set _ZN9rocsparseL49gtsv_nopivot_strided_batch_pcr_pow2_shared_kernelILj16E21rocsparse_complex_numIdEEEviiiPKT0_S5_S5_PS3_.uses_flat_scratch, 0
	.set _ZN9rocsparseL49gtsv_nopivot_strided_batch_pcr_pow2_shared_kernelILj16E21rocsparse_complex_numIdEEEviiiPKT0_S5_S5_PS3_.has_dyn_sized_stack, 0
	.set _ZN9rocsparseL49gtsv_nopivot_strided_batch_pcr_pow2_shared_kernelILj16E21rocsparse_complex_numIdEEEviiiPKT0_S5_S5_PS3_.has_recursion, 0
	.set _ZN9rocsparseL49gtsv_nopivot_strided_batch_pcr_pow2_shared_kernelILj16E21rocsparse_complex_numIdEEEviiiPKT0_S5_S5_PS3_.has_indirect_call, 0
	.section	.AMDGPU.csdata,"",@progbits
; Kernel info:
; codeLenInByte = 2692
; TotalNumSgprs: 18
; NumVgprs: 61
; NumAgprs: 0
; TotalNumVgprs: 61
; ScratchSize: 0
; MemoryBound: 0
; FloatMode: 240
; IeeeMode: 1
; LDSByteSize: 1360 bytes/workgroup (compile time only)
; SGPRBlocks: 2
; VGPRBlocks: 7
; NumSGPRsForWavesPerEU: 18
; NumVGPRsForWavesPerEU: 61
; AccumOffset: 64
; Occupancy: 8
; WaveLimiterHint : 0
; COMPUTE_PGM_RSRC2:SCRATCH_EN: 0
; COMPUTE_PGM_RSRC2:USER_SGPR: 2
; COMPUTE_PGM_RSRC2:TRAP_HANDLER: 0
; COMPUTE_PGM_RSRC2:TGID_X_EN: 1
; COMPUTE_PGM_RSRC2:TGID_Y_EN: 0
; COMPUTE_PGM_RSRC2:TGID_Z_EN: 0
; COMPUTE_PGM_RSRC2:TIDIG_COMP_CNT: 0
; COMPUTE_PGM_RSRC3_GFX90A:ACCUM_OFFSET: 15
; COMPUTE_PGM_RSRC3_GFX90A:TG_SPLIT: 0
	.section	.text._ZN9rocsparseL49gtsv_nopivot_strided_batch_pcr_pow2_shared_kernelILj32E21rocsparse_complex_numIdEEEviiiPKT0_S5_S5_PS3_,"axG",@progbits,_ZN9rocsparseL49gtsv_nopivot_strided_batch_pcr_pow2_shared_kernelILj32E21rocsparse_complex_numIdEEEviiiPKT0_S5_S5_PS3_,comdat
	.globl	_ZN9rocsparseL49gtsv_nopivot_strided_batch_pcr_pow2_shared_kernelILj32E21rocsparse_complex_numIdEEEviiiPKT0_S5_S5_PS3_ ; -- Begin function _ZN9rocsparseL49gtsv_nopivot_strided_batch_pcr_pow2_shared_kernelILj32E21rocsparse_complex_numIdEEEviiiPKT0_S5_S5_PS3_
	.p2align	8
	.type	_ZN9rocsparseL49gtsv_nopivot_strided_batch_pcr_pow2_shared_kernelILj32E21rocsparse_complex_numIdEEEviiiPKT0_S5_S5_PS3_,@function
_ZN9rocsparseL49gtsv_nopivot_strided_batch_pcr_pow2_shared_kernelILj32E21rocsparse_complex_numIdEEEviiiPKT0_S5_S5_PS3_: ; @_ZN9rocsparseL49gtsv_nopivot_strided_batch_pcr_pow2_shared_kernelILj32E21rocsparse_complex_numIdEEEviiiPKT0_S5_S5_PS3_
; %bb.0:
	s_load_dword s3, s[0:1], 0x8
	s_load_dwordx8 s[4:11], s[0:1], 0x10
	v_sub_u32_e64 v22, v0, 1 clamp
	v_lshlrev_b32_e32 v1, 4, v0
	v_lshlrev_b32_e32 v42, 4, v22
	s_waitcnt lgkmcnt(0)
	s_mul_i32 s3, s3, s2
	v_add_u32_e32 v2, s3, v0
	v_ashrrev_i32_e32 v3, 31, v2
	v_lshlrev_b64 v[2:3], 4, v[2:3]
	v_lshl_add_u64 v[4:5], s[4:5], 0, v[2:3]
	v_lshl_add_u64 v[14:15], s[6:7], 0, v[2:3]
	global_load_dwordx4 v[6:9], v[4:5], off
	global_load_dwordx4 v[10:13], v[14:15], off
	v_lshl_add_u64 v[4:5], s[8:9], 0, v[2:3]
	global_load_dwordx4 v[14:17], v[4:5], off
	v_lshl_add_u64 v[2:3], s[10:11], 0, v[2:3]
	global_load_dwordx4 v[18:21], v[2:3], off
	v_min_u32_e32 v5, 30, v0
	v_add_u32_e32 v4, 0x840, v1
	v_lshlrev_b32_e32 v5, 4, v5
	s_waitcnt vmcnt(3)
	ds_write2_b64 v1, v[6:7], v[8:9] offset1:1
	s_waitcnt vmcnt(2)
	ds_write2_b64 v1, v[10:11], v[12:13] offset0:66 offset1:67
	s_waitcnt vmcnt(1)
	ds_write2_b64 v1, v[14:15], v[16:17] offset0:132 offset1:133
	s_waitcnt vmcnt(0)
	ds_write2_b64 v4, v[18:19], v[20:21] offset1:1
	s_waitcnt lgkmcnt(0)
	; wave barrier
	ds_read_b128 v[6:9], v42 offset:528
	ds_read_b128 v[10:13], v1
	ds_read_b128 v[14:17], v1 offset:528
	ds_read_b128 v[18:21], v5 offset:544
	;; [unrolled: 1-line block ×7, first 2 shown]
	ds_read_b128 v[42:45], v42
	ds_read_b128 v[46:49], v5 offset:2128
	ds_read_b128 v[50:53], v5 offset:1072
	s_waitcnt lgkmcnt(11)
	v_mul_f64 v[54:55], v[8:9], v[8:9]
	s_waitcnt lgkmcnt(10)
	v_mul_f64 v[56:57], v[8:9], v[12:13]
	v_mul_f64 v[8:9], v[8:9], -v[10:11]
	v_fmac_f64_e32 v[56:57], v[10:11], v[6:7]
	v_fmac_f64_e32 v[8:9], v[12:13], v[6:7]
	s_waitcnt lgkmcnt(8)
	v_mul_f64 v[10:11], v[20:21], v[20:21]
	s_waitcnt lgkmcnt(4)
	v_mul_f64 v[12:13], v[20:21], v[36:37]
	v_fmac_f64_e32 v[54:55], v[6:7], v[6:7]
	v_mul_f64 v[6:7], v[20:21], -v[34:35]
	v_fmac_f64_e32 v[10:11], v[18:19], v[18:19]
	v_fmac_f64_e32 v[12:13], v[34:35], v[18:19]
	;; [unrolled: 1-line block ×3, first 2 shown]
	v_div_scale_f64 v[18:19], s[0:1], v[54:55], v[54:55], 1.0
	v_rcp_f64_e32 v[20:21], v[18:19]
	v_div_scale_f64 v[34:35], vcc, 1.0, v[54:55], 1.0
	v_div_scale_f64 v[36:37], s[0:1], v[10:11], v[10:11], 1.0
	v_fma_f64 v[58:59], -v[18:19], v[20:21], 1.0
	v_fmac_f64_e32 v[20:21], v[20:21], v[58:59]
	v_fma_f64 v[58:59], -v[18:19], v[20:21], 1.0
	v_fmac_f64_e32 v[20:21], v[20:21], v[58:59]
	v_mul_f64 v[58:59], v[34:35], v[20:21]
	v_fma_f64 v[18:19], -v[18:19], v[58:59], v[34:35]
	v_rcp_f64_e32 v[34:35], v[36:37]
	v_div_fmas_f64 v[18:19], v[18:19], v[20:21], v[58:59]
	v_div_scale_f64 v[20:21], vcc, 1.0, v[10:11], 1.0
	v_fma_f64 v[58:59], -v[36:37], v[34:35], 1.0
	v_fmac_f64_e32 v[34:35], v[34:35], v[58:59]
	v_fma_f64 v[58:59], -v[36:37], v[34:35], 1.0
	v_fmac_f64_e32 v[34:35], v[34:35], v[58:59]
	v_mul_f64 v[58:59], v[20:21], v[34:35]
	v_fma_f64 v[20:21], -v[36:37], v[58:59], v[20:21]
	v_div_fixup_f64 v[18:19], v[18:19], v[54:55], 1.0
	v_div_fmas_f64 v[20:21], v[20:21], v[34:35], v[58:59]
	v_mul_f64 v[8:9], v[18:19], v[8:9]
	v_div_fixup_f64 v[10:11], v[20:21], v[10:11], 1.0
	v_mul_f64 v[34:35], v[18:19], v[56:57]
	v_mul_f64 v[12:13], v[10:11], v[12:13]
	;; [unrolled: 1-line block ×3, first 2 shown]
	v_mul_f64 v[18:19], v[8:9], -v[28:29]
	v_mul_f64 v[20:21], v[8:9], v[26:27]
	v_mul_f64 v[36:37], v[8:9], -v[32:33]
	v_mul_f64 v[54:55], v[8:9], v[30:31]
	s_waitcnt lgkmcnt(2)
	v_mul_f64 v[6:7], v[8:9], v[44:45]
	v_mul_f64 v[8:9], v[8:9], -v[42:43]
	v_fmac_f64_e32 v[18:19], v[26:27], v[34:35]
	v_fmac_f64_e32 v[20:21], v[28:29], v[34:35]
	v_mul_f64 v[26:27], v[10:11], -v[24:25]
	v_mul_f64 v[28:29], v[10:11], v[22:23]
	v_fmac_f64_e32 v[36:37], v[30:31], v[34:35]
	v_fmac_f64_e32 v[54:55], v[32:33], v[34:35]
	s_waitcnt lgkmcnt(1)
	v_mul_f64 v[30:31], v[10:11], -v[48:49]
	v_mul_f64 v[32:33], v[10:11], v[46:47]
	v_fma_f64 v[6:7], -v[42:43], v[34:35], v[6:7]
	v_fma_f64 v[8:9], -v[44:45], v[34:35], v[8:9]
	s_waitcnt lgkmcnt(0)
	v_mul_f64 v[34:35], v[10:11], v[52:53]
	v_mul_f64 v[42:43], v[10:11], -v[50:51]
	v_add_f64 v[14:15], v[14:15], -v[18:19]
	v_add_f64 v[16:17], v[16:17], -v[20:21]
	v_fmac_f64_e32 v[26:27], v[22:23], v[12:13]
	v_fmac_f64_e32 v[28:29], v[24:25], v[12:13]
	v_sub_u32_e64 v5, v0, 2 clamp
	v_add_f64 v[18:19], v[38:39], -v[36:37]
	v_add_f64 v[20:21], v[40:41], -v[54:55]
	v_fmac_f64_e32 v[30:31], v[46:47], v[12:13]
	v_fmac_f64_e32 v[32:33], v[48:49], v[12:13]
	v_fma_f64 v[10:11], -v[50:51], v[12:13], v[34:35]
	v_add_f64 v[14:15], v[14:15], -v[26:27]
	v_add_f64 v[16:17], v[16:17], -v[28:29]
	v_fma_f64 v[12:13], -v[52:53], v[12:13], v[42:43]
	v_lshlrev_b32_e32 v5, 4, v5
	v_add_f64 v[18:19], v[18:19], -v[30:31]
	v_add_f64 v[20:21], v[20:21], -v[32:33]
	; wave barrier
	ds_write_b128 v1, v[14:17] offset:528
	ds_write_b128 v1, v[18:21] offset:2112
	ds_write_b128 v1, v[6:9]
	ds_write_b128 v1, v[10:13] offset:1056
	s_waitcnt lgkmcnt(0)
	; wave barrier
	ds_read_b128 v[6:9], v5 offset:528
	ds_read_b128 v[10:13], v5
	v_min_u32_e32 v28, 29, v0
	ds_read_b128 v[14:17], v1
	v_lshlrev_b32_e32 v42, 4, v28
	s_waitcnt lgkmcnt(2)
	v_mul_f64 v[18:19], v[8:9], v[8:9]
	v_fmac_f64_e32 v[18:19], v[6:7], v[6:7]
	v_div_scale_f64 v[20:21], s[0:1], v[18:19], v[18:19], 1.0
	v_rcp_f64_e32 v[22:23], v[20:21]
	s_nop 0
	v_fma_f64 v[24:25], -v[20:21], v[22:23], 1.0
	v_fmac_f64_e32 v[22:23], v[22:23], v[24:25]
	v_fma_f64 v[24:25], -v[20:21], v[22:23], 1.0
	v_fmac_f64_e32 v[22:23], v[22:23], v[24:25]
	v_div_scale_f64 v[24:25], vcc, 1.0, v[18:19], 1.0
	v_mul_f64 v[26:27], v[24:25], v[22:23]
	v_fma_f64 v[20:21], -v[20:21], v[26:27], v[24:25]
	s_nop 1
	v_div_fmas_f64 v[20:21], v[20:21], v[22:23], v[26:27]
	ds_read_b128 v[22:25], v42 offset:560
	v_div_fixup_f64 v[30:31], v[20:21], v[18:19], 1.0
	ds_read_b128 v[18:21], v1 offset:528
	s_waitcnt lgkmcnt(2)
	v_mul_f64 v[26:27], v[8:9], v[16:17]
	v_fmac_f64_e32 v[26:27], v[14:15], v[6:7]
	v_mul_f64 v[34:35], v[30:31], v[26:27]
	v_mul_f64 v[8:9], v[8:9], -v[14:15]
	ds_read_b128 v[26:29], v42 offset:32
	s_waitcnt lgkmcnt(2)
	v_mul_f64 v[14:15], v[24:25], v[24:25]
	v_fmac_f64_e32 v[14:15], v[22:23], v[22:23]
	v_div_scale_f64 v[32:33], s[0:1], v[14:15], v[14:15], 1.0
	v_rcp_f64_e32 v[36:37], v[32:33]
	v_fmac_f64_e32 v[8:9], v[16:17], v[6:7]
	v_mul_f64 v[38:39], v[30:31], v[8:9]
	ds_read_b128 v[6:9], v1 offset:1056
	v_fma_f64 v[16:17], -v[32:33], v[36:37], 1.0
	v_fmac_f64_e32 v[36:37], v[36:37], v[16:17]
	v_fma_f64 v[16:17], -v[32:33], v[36:37], 1.0
	v_fmac_f64_e32 v[36:37], v[36:37], v[16:17]
	v_div_scale_f64 v[16:17], vcc, 1.0, v[14:15], 1.0
	v_mul_f64 v[30:31], v[16:17], v[36:37]
	v_fma_f64 v[16:17], -v[32:33], v[30:31], v[16:17]
	s_nop 1
	v_div_fmas_f64 v[16:17], v[16:17], v[36:37], v[30:31]
	v_div_fixup_f64 v[36:37], v[16:17], v[14:15], 1.0
	ds_read_b128 v[14:17], v1 offset:2112
	s_waitcnt lgkmcnt(1)
	v_mul_f64 v[30:31], v[24:25], v[8:9]
	v_fmac_f64_e32 v[30:31], v[6:7], v[22:23]
	v_mul_f64 v[40:41], v[36:37], v[30:31]
	ds_read_b128 v[30:33], v5 offset:1056
	v_mul_f64 v[6:7], v[24:25], -v[6:7]
	v_fmac_f64_e32 v[6:7], v[8:9], v[22:23]
	v_mul_f64 v[36:37], v[36:37], v[6:7]
	ds_read_b128 v[6:9], v5 offset:2112
	s_waitcnt lgkmcnt(1)
	v_mul_f64 v[22:23], v[38:39], -v[32:33]
	v_mul_f64 v[24:25], v[38:39], v[30:31]
	v_fmac_f64_e32 v[22:23], v[30:31], v[34:35]
	v_fmac_f64_e32 v[24:25], v[32:33], v[34:35]
	v_add_f64 v[18:19], v[18:19], -v[22:23]
	v_add_f64 v[20:21], v[20:21], -v[24:25]
	v_mul_f64 v[22:23], v[36:37], -v[28:29]
	v_mul_f64 v[24:25], v[36:37], v[26:27]
	v_fmac_f64_e32 v[22:23], v[26:27], v[40:41]
	v_fmac_f64_e32 v[24:25], v[28:29], v[40:41]
	v_add_f64 v[18:19], v[18:19], -v[22:23]
	v_add_f64 v[20:21], v[20:21], -v[24:25]
	ds_read_b128 v[22:25], v42 offset:2144
	s_waitcnt lgkmcnt(1)
	v_mul_f64 v[26:27], v[38:39], -v[8:9]
	v_fmac_f64_e32 v[26:27], v[6:7], v[34:35]
	v_mul_f64 v[6:7], v[38:39], v[6:7]
	v_fmac_f64_e32 v[6:7], v[8:9], v[34:35]
	v_add_f64 v[14:15], v[14:15], -v[26:27]
	v_add_f64 v[16:17], v[16:17], -v[6:7]
	ds_read_b128 v[6:9], v42 offset:1088
	s_waitcnt lgkmcnt(1)
	v_mul_f64 v[26:27], v[36:37], -v[24:25]
	v_fmac_f64_e32 v[26:27], v[22:23], v[40:41]
	v_mul_f64 v[22:23], v[36:37], v[22:23]
	v_fmac_f64_e32 v[22:23], v[24:25], v[40:41]
	v_add_f64 v[16:17], v[16:17], -v[22:23]
	v_mul_f64 v[22:23], v[38:39], v[12:13]
	v_fma_f64 v[22:23], -v[10:11], v[34:35], v[22:23]
	v_mul_f64 v[10:11], v[38:39], -v[10:11]
	v_fma_f64 v[24:25], -v[12:13], v[34:35], v[10:11]
	s_waitcnt lgkmcnt(0)
	v_mul_f64 v[10:11], v[36:37], v[8:9]
	v_fma_f64 v[10:11], -v[6:7], v[40:41], v[10:11]
	v_mul_f64 v[6:7], v[36:37], -v[6:7]
	v_sub_u32_e64 v5, v0, 4 clamp
	v_fma_f64 v[12:13], -v[8:9], v[40:41], v[6:7]
	v_lshlrev_b32_e32 v5, 4, v5
	v_add_f64 v[14:15], v[14:15], -v[26:27]
	; wave barrier
	ds_write_b128 v1, v[18:21] offset:528
	ds_write_b128 v1, v[14:17] offset:2112
	ds_write_b128 v1, v[22:25]
	ds_write_b128 v1, v[10:13] offset:1056
	s_waitcnt lgkmcnt(0)
	; wave barrier
	ds_read_b128 v[6:9], v5 offset:528
	ds_read_b128 v[10:13], v5
	v_min_u32_e32 v28, 27, v0
	ds_read_b128 v[14:17], v1
	v_lshlrev_b32_e32 v42, 4, v28
	s_waitcnt lgkmcnt(2)
	v_mul_f64 v[18:19], v[8:9], v[8:9]
	v_fmac_f64_e32 v[18:19], v[6:7], v[6:7]
	v_div_scale_f64 v[20:21], s[0:1], v[18:19], v[18:19], 1.0
	v_rcp_f64_e32 v[22:23], v[20:21]
	s_nop 0
	v_fma_f64 v[24:25], -v[20:21], v[22:23], 1.0
	v_fmac_f64_e32 v[22:23], v[22:23], v[24:25]
	v_fma_f64 v[24:25], -v[20:21], v[22:23], 1.0
	v_fmac_f64_e32 v[22:23], v[22:23], v[24:25]
	v_div_scale_f64 v[24:25], vcc, 1.0, v[18:19], 1.0
	v_mul_f64 v[26:27], v[24:25], v[22:23]
	v_fma_f64 v[20:21], -v[20:21], v[26:27], v[24:25]
	s_nop 1
	v_div_fmas_f64 v[20:21], v[20:21], v[22:23], v[26:27]
	ds_read_b128 v[22:25], v42 offset:592
	v_div_fixup_f64 v[30:31], v[20:21], v[18:19], 1.0
	ds_read_b128 v[18:21], v1 offset:528
	s_waitcnt lgkmcnt(2)
	v_mul_f64 v[26:27], v[8:9], v[16:17]
	v_fmac_f64_e32 v[26:27], v[14:15], v[6:7]
	v_mul_f64 v[34:35], v[30:31], v[26:27]
	v_mul_f64 v[8:9], v[8:9], -v[14:15]
	ds_read_b128 v[26:29], v42 offset:64
	s_waitcnt lgkmcnt(2)
	v_mul_f64 v[14:15], v[24:25], v[24:25]
	v_fmac_f64_e32 v[14:15], v[22:23], v[22:23]
	v_div_scale_f64 v[32:33], s[0:1], v[14:15], v[14:15], 1.0
	v_rcp_f64_e32 v[36:37], v[32:33]
	v_fmac_f64_e32 v[8:9], v[16:17], v[6:7]
	v_mul_f64 v[38:39], v[30:31], v[8:9]
	ds_read_b128 v[6:9], v1 offset:1056
	v_fma_f64 v[16:17], -v[32:33], v[36:37], 1.0
	v_fmac_f64_e32 v[36:37], v[36:37], v[16:17]
	v_fma_f64 v[16:17], -v[32:33], v[36:37], 1.0
	v_fmac_f64_e32 v[36:37], v[36:37], v[16:17]
	v_div_scale_f64 v[16:17], vcc, 1.0, v[14:15], 1.0
	v_mul_f64 v[30:31], v[16:17], v[36:37]
	v_fma_f64 v[16:17], -v[32:33], v[30:31], v[16:17]
	s_nop 1
	v_div_fmas_f64 v[16:17], v[16:17], v[36:37], v[30:31]
	v_div_fixup_f64 v[36:37], v[16:17], v[14:15], 1.0
	ds_read_b128 v[14:17], v1 offset:2112
	s_waitcnt lgkmcnt(1)
	v_mul_f64 v[30:31], v[24:25], v[8:9]
	v_fmac_f64_e32 v[30:31], v[6:7], v[22:23]
	v_mul_f64 v[40:41], v[36:37], v[30:31]
	ds_read_b128 v[30:33], v5 offset:1056
	v_mul_f64 v[6:7], v[24:25], -v[6:7]
	v_fmac_f64_e32 v[6:7], v[8:9], v[22:23]
	v_mul_f64 v[36:37], v[36:37], v[6:7]
	ds_read_b128 v[6:9], v5 offset:2112
	s_waitcnt lgkmcnt(1)
	v_mul_f64 v[22:23], v[38:39], -v[32:33]
	v_mul_f64 v[24:25], v[38:39], v[30:31]
	v_fmac_f64_e32 v[22:23], v[30:31], v[34:35]
	v_fmac_f64_e32 v[24:25], v[32:33], v[34:35]
	v_add_f64 v[18:19], v[18:19], -v[22:23]
	v_add_f64 v[20:21], v[20:21], -v[24:25]
	v_mul_f64 v[22:23], v[36:37], -v[28:29]
	v_mul_f64 v[24:25], v[36:37], v[26:27]
	v_fmac_f64_e32 v[22:23], v[26:27], v[40:41]
	v_fmac_f64_e32 v[24:25], v[28:29], v[40:41]
	v_add_f64 v[18:19], v[18:19], -v[22:23]
	v_add_f64 v[20:21], v[20:21], -v[24:25]
	ds_read_b128 v[22:25], v42 offset:2176
	s_waitcnt lgkmcnt(1)
	v_mul_f64 v[26:27], v[38:39], -v[8:9]
	v_fmac_f64_e32 v[26:27], v[6:7], v[34:35]
	v_mul_f64 v[6:7], v[38:39], v[6:7]
	v_fmac_f64_e32 v[6:7], v[8:9], v[34:35]
	v_add_f64 v[14:15], v[14:15], -v[26:27]
	v_add_f64 v[16:17], v[16:17], -v[6:7]
	ds_read_b128 v[6:9], v42 offset:1120
	s_waitcnt lgkmcnt(1)
	v_mul_f64 v[26:27], v[36:37], -v[24:25]
	v_fmac_f64_e32 v[26:27], v[22:23], v[40:41]
	v_mul_f64 v[22:23], v[36:37], v[22:23]
	v_fmac_f64_e32 v[22:23], v[24:25], v[40:41]
	v_add_f64 v[16:17], v[16:17], -v[22:23]
	v_mul_f64 v[22:23], v[38:39], v[12:13]
	v_fma_f64 v[22:23], -v[10:11], v[34:35], v[22:23]
	v_mul_f64 v[10:11], v[38:39], -v[10:11]
	v_fma_f64 v[24:25], -v[12:13], v[34:35], v[10:11]
	s_waitcnt lgkmcnt(0)
	v_mul_f64 v[10:11], v[36:37], v[8:9]
	v_fma_f64 v[10:11], -v[6:7], v[40:41], v[10:11]
	v_mul_f64 v[6:7], v[36:37], -v[6:7]
	v_sub_u32_e64 v5, v0, 8 clamp
	v_fma_f64 v[12:13], -v[8:9], v[40:41], v[6:7]
	v_lshlrev_b32_e32 v5, 4, v5
	v_add_f64 v[14:15], v[14:15], -v[26:27]
	; wave barrier
	ds_write_b128 v1, v[18:21] offset:528
	ds_write_b128 v1, v[14:17] offset:2112
	ds_write_b128 v1, v[22:25]
	ds_write_b128 v1, v[10:13] offset:1056
	s_waitcnt lgkmcnt(0)
	; wave barrier
	ds_read_b128 v[6:9], v5 offset:528
	ds_read_b128 v[10:13], v5
	v_min_u32_e32 v28, 23, v0
	ds_read_b128 v[14:17], v1
	v_lshlrev_b32_e32 v42, 4, v28
	s_waitcnt lgkmcnt(2)
	v_mul_f64 v[18:19], v[8:9], v[8:9]
	v_fmac_f64_e32 v[18:19], v[6:7], v[6:7]
	v_div_scale_f64 v[20:21], s[0:1], v[18:19], v[18:19], 1.0
	v_rcp_f64_e32 v[22:23], v[20:21]
	s_nop 0
	v_fma_f64 v[24:25], -v[20:21], v[22:23], 1.0
	v_fmac_f64_e32 v[22:23], v[22:23], v[24:25]
	v_fma_f64 v[24:25], -v[20:21], v[22:23], 1.0
	v_fmac_f64_e32 v[22:23], v[22:23], v[24:25]
	v_div_scale_f64 v[24:25], vcc, 1.0, v[18:19], 1.0
	v_mul_f64 v[26:27], v[24:25], v[22:23]
	v_fma_f64 v[20:21], -v[20:21], v[26:27], v[24:25]
	s_nop 1
	v_div_fmas_f64 v[20:21], v[20:21], v[22:23], v[26:27]
	ds_read_b128 v[22:25], v42 offset:656
	v_div_fixup_f64 v[30:31], v[20:21], v[18:19], 1.0
	ds_read_b128 v[18:21], v1 offset:528
	s_waitcnt lgkmcnt(2)
	v_mul_f64 v[26:27], v[8:9], v[16:17]
	v_fmac_f64_e32 v[26:27], v[14:15], v[6:7]
	v_mul_f64 v[34:35], v[30:31], v[26:27]
	v_mul_f64 v[8:9], v[8:9], -v[14:15]
	ds_read_b128 v[26:29], v42 offset:128
	s_waitcnt lgkmcnt(2)
	v_mul_f64 v[14:15], v[24:25], v[24:25]
	v_fmac_f64_e32 v[14:15], v[22:23], v[22:23]
	v_div_scale_f64 v[32:33], s[0:1], v[14:15], v[14:15], 1.0
	v_rcp_f64_e32 v[36:37], v[32:33]
	v_fmac_f64_e32 v[8:9], v[16:17], v[6:7]
	v_mul_f64 v[38:39], v[30:31], v[8:9]
	ds_read_b128 v[6:9], v1 offset:1056
	v_fma_f64 v[16:17], -v[32:33], v[36:37], 1.0
	v_fmac_f64_e32 v[36:37], v[36:37], v[16:17]
	v_fma_f64 v[16:17], -v[32:33], v[36:37], 1.0
	v_fmac_f64_e32 v[36:37], v[36:37], v[16:17]
	v_div_scale_f64 v[16:17], vcc, 1.0, v[14:15], 1.0
	v_mul_f64 v[30:31], v[16:17], v[36:37]
	v_fma_f64 v[16:17], -v[32:33], v[30:31], v[16:17]
	s_nop 1
	v_div_fmas_f64 v[16:17], v[16:17], v[36:37], v[30:31]
	v_div_fixup_f64 v[36:37], v[16:17], v[14:15], 1.0
	ds_read_b128 v[14:17], v1 offset:2112
	s_waitcnt lgkmcnt(1)
	v_mul_f64 v[30:31], v[24:25], v[8:9]
	v_fmac_f64_e32 v[30:31], v[6:7], v[22:23]
	v_mul_f64 v[40:41], v[36:37], v[30:31]
	ds_read_b128 v[30:33], v5 offset:1056
	v_mul_f64 v[6:7], v[24:25], -v[6:7]
	v_fmac_f64_e32 v[6:7], v[8:9], v[22:23]
	v_mul_f64 v[36:37], v[36:37], v[6:7]
	ds_read_b128 v[6:9], v5 offset:2112
	s_waitcnt lgkmcnt(1)
	v_mul_f64 v[22:23], v[38:39], -v[32:33]
	v_mul_f64 v[24:25], v[38:39], v[30:31]
	v_fmac_f64_e32 v[22:23], v[30:31], v[34:35]
	v_fmac_f64_e32 v[24:25], v[32:33], v[34:35]
	v_add_f64 v[18:19], v[18:19], -v[22:23]
	v_add_f64 v[20:21], v[20:21], -v[24:25]
	v_mul_f64 v[22:23], v[36:37], -v[28:29]
	v_mul_f64 v[24:25], v[36:37], v[26:27]
	v_fmac_f64_e32 v[22:23], v[26:27], v[40:41]
	v_fmac_f64_e32 v[24:25], v[28:29], v[40:41]
	v_add_f64 v[18:19], v[18:19], -v[22:23]
	v_add_f64 v[20:21], v[20:21], -v[24:25]
	ds_read_b128 v[22:25], v42 offset:2240
	s_waitcnt lgkmcnt(1)
	v_mul_f64 v[26:27], v[38:39], -v[8:9]
	v_fmac_f64_e32 v[26:27], v[6:7], v[34:35]
	v_mul_f64 v[6:7], v[38:39], v[6:7]
	v_fmac_f64_e32 v[6:7], v[8:9], v[34:35]
	v_add_f64 v[14:15], v[14:15], -v[26:27]
	v_add_f64 v[16:17], v[16:17], -v[6:7]
	ds_read_b128 v[6:9], v42 offset:1184
	s_waitcnt lgkmcnt(1)
	v_mul_f64 v[26:27], v[36:37], -v[24:25]
	v_fmac_f64_e32 v[26:27], v[22:23], v[40:41]
	v_mul_f64 v[22:23], v[36:37], v[22:23]
	v_fmac_f64_e32 v[22:23], v[24:25], v[40:41]
	v_add_f64 v[16:17], v[16:17], -v[22:23]
	v_mul_f64 v[22:23], v[38:39], v[12:13]
	v_fma_f64 v[22:23], -v[10:11], v[34:35], v[22:23]
	v_mul_f64 v[10:11], v[38:39], -v[10:11]
	v_fma_f64 v[24:25], -v[12:13], v[34:35], v[10:11]
	s_waitcnt lgkmcnt(0)
	v_mul_f64 v[10:11], v[36:37], v[8:9]
	v_fma_f64 v[10:11], -v[6:7], v[40:41], v[10:11]
	v_mul_f64 v[6:7], v[36:37], -v[6:7]
	v_cmp_gt_u32_e32 vcc, 16, v0
	v_add_f64 v[14:15], v[14:15], -v[26:27]
	v_fma_f64 v[12:13], -v[8:9], v[40:41], v[6:7]
	; wave barrier
	ds_write_b128 v1, v[18:21] offset:528
	ds_write_b128 v1, v[14:17] offset:2112
	ds_write_b128 v1, v[22:25]
	ds_write_b128 v1, v[10:13] offset:1056
	s_waitcnt lgkmcnt(0)
	; wave barrier
	s_and_saveexec_b64 s[0:1], vcc
	s_cbranch_execz .LBB67_2
; %bb.1:
	v_add_u32_e32 v0, 0x210, v1
	ds_read_b128 v[6:9], v0
	ds_read_b128 v[10:13], v0 offset:256
	v_add_u32_e32 v0, 0x420, v1
	ds_read_b128 v[14:17], v1 offset:256
	ds_read_b128 v[18:21], v0
	s_waitcnt lgkmcnt(2)
	v_mul_f64 v[24:25], v[8:9], v[10:11]
	v_mul_f64 v[22:23], v[8:9], -v[12:13]
	s_waitcnt lgkmcnt(0)
	v_mul_f64 v[28:29], v[16:17], v[18:19]
	v_fmac_f64_e32 v[24:25], v[12:13], v[6:7]
	v_mul_f64 v[26:27], v[16:17], -v[20:21]
	v_fmac_f64_e32 v[28:29], v[20:21], v[14:15]
	v_fmac_f64_e32 v[22:23], v[10:11], v[6:7]
	;; [unrolled: 1-line block ×3, first 2 shown]
	v_add_f64 v[28:29], v[24:25], -v[28:29]
	v_add_f64 v[26:27], v[22:23], -v[26:27]
	v_mul_f64 v[22:23], v[28:29], v[28:29]
	v_fmac_f64_e32 v[22:23], v[26:27], v[26:27]
	v_div_scale_f64 v[24:25], s[2:3], v[22:23], v[22:23], 1.0
	v_rcp_f64_e32 v[30:31], v[24:25]
	s_nop 0
	v_fma_f64 v[32:33], -v[24:25], v[30:31], 1.0
	v_fmac_f64_e32 v[30:31], v[30:31], v[32:33]
	v_fma_f64 v[32:33], -v[24:25], v[30:31], 1.0
	v_fmac_f64_e32 v[30:31], v[30:31], v[32:33]
	v_div_scale_f64 v[32:33], vcc, 1.0, v[22:23], 1.0
	v_mul_f64 v[34:35], v[32:33], v[30:31]
	v_fma_f64 v[24:25], -v[24:25], v[34:35], v[32:33]
	v_fma_f64 v[32:33], 0, v[28:29], v[26:27]
	s_nop 0
	v_div_fmas_f64 v[24:25], v[24:25], v[30:31], v[34:35]
	v_div_fixup_f64 v[30:31], v[24:25], v[22:23], 1.0
	ds_read_b128 v[22:25], v4
	v_fma_f64 v[26:27], v[26:27], 0, -v[28:29]
	v_mul_f64 v[32:33], v[32:33], v[30:31]
	v_mul_f64 v[30:31], v[26:27], v[30:31]
	ds_read_b128 v[26:29], v4 offset:256
	s_waitcnt lgkmcnt(1)
	v_mul_f64 v[4:5], v[24:25], -v[12:13]
	v_fmac_f64_e32 v[4:5], v[10:11], v[22:23]
	v_mul_f64 v[10:11], v[10:11], v[24:25]
	v_fmac_f64_e32 v[10:11], v[12:13], v[22:23]
	s_waitcnt lgkmcnt(0)
	v_mul_f64 v[12:13], v[28:29], -v[20:21]
	v_fmac_f64_e32 v[12:13], v[18:19], v[26:27]
	v_mul_f64 v[18:19], v[18:19], v[28:29]
	v_fmac_f64_e32 v[18:19], v[20:21], v[26:27]
	v_add_f64 v[4:5], v[4:5], -v[12:13]
	v_add_f64 v[18:19], v[10:11], -v[18:19]
	v_mul_f64 v[10:11], v[30:31], -v[18:19]
	v_mul_f64 v[12:13], v[30:31], v[4:5]
	v_fmac_f64_e32 v[10:11], v[4:5], v[32:33]
	v_fmac_f64_e32 v[12:13], v[18:19], v[32:33]
	ds_write_b128 v1, v[10:13] offset:1584
	v_mul_f64 v[4:5], v[8:9], -v[28:29]
	v_mul_f64 v[8:9], v[8:9], v[26:27]
	v_mul_f64 v[10:11], v[16:17], v[22:23]
	v_fmac_f64_e32 v[4:5], v[26:27], v[6:7]
	v_fmac_f64_e32 v[8:9], v[28:29], v[6:7]
	v_mul_f64 v[6:7], v[16:17], -v[24:25]
	v_fmac_f64_e32 v[10:11], v[24:25], v[14:15]
	v_fmac_f64_e32 v[6:7], v[22:23], v[14:15]
	v_add_f64 v[8:9], v[8:9], -v[10:11]
	v_add_f64 v[6:7], v[4:5], -v[6:7]
	v_mul_f64 v[4:5], v[30:31], -v[8:9]
	v_fmac_f64_e32 v[4:5], v[6:7], v[32:33]
	v_mul_f64 v[6:7], v[30:31], v[6:7]
	v_fmac_f64_e32 v[6:7], v[8:9], v[32:33]
	ds_write_b128 v1, v[4:7] offset:1840
.LBB67_2:
	s_or_b64 exec, exec, s[0:1]
	s_waitcnt lgkmcnt(0)
	; wave barrier
	ds_read2_b64 v[4:7], v1 offset0:198 offset1:199
	s_waitcnt lgkmcnt(0)
	global_store_dwordx4 v[2:3], v[4:7], off
	s_endpgm
	.section	.rodata,"a",@progbits
	.p2align	6, 0x0
	.amdhsa_kernel _ZN9rocsparseL49gtsv_nopivot_strided_batch_pcr_pow2_shared_kernelILj32E21rocsparse_complex_numIdEEEviiiPKT0_S5_S5_PS3_
		.amdhsa_group_segment_fixed_size 2640
		.amdhsa_private_segment_fixed_size 0
		.amdhsa_kernarg_size 48
		.amdhsa_user_sgpr_count 2
		.amdhsa_user_sgpr_dispatch_ptr 0
		.amdhsa_user_sgpr_queue_ptr 0
		.amdhsa_user_sgpr_kernarg_segment_ptr 1
		.amdhsa_user_sgpr_dispatch_id 0
		.amdhsa_user_sgpr_kernarg_preload_length 0
		.amdhsa_user_sgpr_kernarg_preload_offset 0
		.amdhsa_user_sgpr_private_segment_size 0
		.amdhsa_uses_dynamic_stack 0
		.amdhsa_enable_private_segment 0
		.amdhsa_system_sgpr_workgroup_id_x 1
		.amdhsa_system_sgpr_workgroup_id_y 0
		.amdhsa_system_sgpr_workgroup_id_z 0
		.amdhsa_system_sgpr_workgroup_info 0
		.amdhsa_system_vgpr_workitem_id 0
		.amdhsa_next_free_vgpr 60
		.amdhsa_next_free_sgpr 12
		.amdhsa_accum_offset 60
		.amdhsa_reserve_vcc 1
		.amdhsa_float_round_mode_32 0
		.amdhsa_float_round_mode_16_64 0
		.amdhsa_float_denorm_mode_32 3
		.amdhsa_float_denorm_mode_16_64 3
		.amdhsa_dx10_clamp 1
		.amdhsa_ieee_mode 1
		.amdhsa_fp16_overflow 0
		.amdhsa_tg_split 0
		.amdhsa_exception_fp_ieee_invalid_op 0
		.amdhsa_exception_fp_denorm_src 0
		.amdhsa_exception_fp_ieee_div_zero 0
		.amdhsa_exception_fp_ieee_overflow 0
		.amdhsa_exception_fp_ieee_underflow 0
		.amdhsa_exception_fp_ieee_inexact 0
		.amdhsa_exception_int_div_zero 0
	.end_amdhsa_kernel
	.section	.text._ZN9rocsparseL49gtsv_nopivot_strided_batch_pcr_pow2_shared_kernelILj32E21rocsparse_complex_numIdEEEviiiPKT0_S5_S5_PS3_,"axG",@progbits,_ZN9rocsparseL49gtsv_nopivot_strided_batch_pcr_pow2_shared_kernelILj32E21rocsparse_complex_numIdEEEviiiPKT0_S5_S5_PS3_,comdat
.Lfunc_end67:
	.size	_ZN9rocsparseL49gtsv_nopivot_strided_batch_pcr_pow2_shared_kernelILj32E21rocsparse_complex_numIdEEEviiiPKT0_S5_S5_PS3_, .Lfunc_end67-_ZN9rocsparseL49gtsv_nopivot_strided_batch_pcr_pow2_shared_kernelILj32E21rocsparse_complex_numIdEEEviiiPKT0_S5_S5_PS3_
                                        ; -- End function
	.set _ZN9rocsparseL49gtsv_nopivot_strided_batch_pcr_pow2_shared_kernelILj32E21rocsparse_complex_numIdEEEviiiPKT0_S5_S5_PS3_.num_vgpr, 60
	.set _ZN9rocsparseL49gtsv_nopivot_strided_batch_pcr_pow2_shared_kernelILj32E21rocsparse_complex_numIdEEEviiiPKT0_S5_S5_PS3_.num_agpr, 0
	.set _ZN9rocsparseL49gtsv_nopivot_strided_batch_pcr_pow2_shared_kernelILj32E21rocsparse_complex_numIdEEEviiiPKT0_S5_S5_PS3_.numbered_sgpr, 12
	.set _ZN9rocsparseL49gtsv_nopivot_strided_batch_pcr_pow2_shared_kernelILj32E21rocsparse_complex_numIdEEEviiiPKT0_S5_S5_PS3_.num_named_barrier, 0
	.set _ZN9rocsparseL49gtsv_nopivot_strided_batch_pcr_pow2_shared_kernelILj32E21rocsparse_complex_numIdEEEviiiPKT0_S5_S5_PS3_.private_seg_size, 0
	.set _ZN9rocsparseL49gtsv_nopivot_strided_batch_pcr_pow2_shared_kernelILj32E21rocsparse_complex_numIdEEEviiiPKT0_S5_S5_PS3_.uses_vcc, 1
	.set _ZN9rocsparseL49gtsv_nopivot_strided_batch_pcr_pow2_shared_kernelILj32E21rocsparse_complex_numIdEEEviiiPKT0_S5_S5_PS3_.uses_flat_scratch, 0
	.set _ZN9rocsparseL49gtsv_nopivot_strided_batch_pcr_pow2_shared_kernelILj32E21rocsparse_complex_numIdEEEviiiPKT0_S5_S5_PS3_.has_dyn_sized_stack, 0
	.set _ZN9rocsparseL49gtsv_nopivot_strided_batch_pcr_pow2_shared_kernelILj32E21rocsparse_complex_numIdEEEviiiPKT0_S5_S5_PS3_.has_recursion, 0
	.set _ZN9rocsparseL49gtsv_nopivot_strided_batch_pcr_pow2_shared_kernelILj32E21rocsparse_complex_numIdEEEviiiPKT0_S5_S5_PS3_.has_indirect_call, 0
	.section	.AMDGPU.csdata,"",@progbits
; Kernel info:
; codeLenInByte = 3364
; TotalNumSgprs: 18
; NumVgprs: 60
; NumAgprs: 0
; TotalNumVgprs: 60
; ScratchSize: 0
; MemoryBound: 0
; FloatMode: 240
; IeeeMode: 1
; LDSByteSize: 2640 bytes/workgroup (compile time only)
; SGPRBlocks: 2
; VGPRBlocks: 7
; NumSGPRsForWavesPerEU: 18
; NumVGPRsForWavesPerEU: 60
; AccumOffset: 60
; Occupancy: 8
; WaveLimiterHint : 0
; COMPUTE_PGM_RSRC2:SCRATCH_EN: 0
; COMPUTE_PGM_RSRC2:USER_SGPR: 2
; COMPUTE_PGM_RSRC2:TRAP_HANDLER: 0
; COMPUTE_PGM_RSRC2:TGID_X_EN: 1
; COMPUTE_PGM_RSRC2:TGID_Y_EN: 0
; COMPUTE_PGM_RSRC2:TGID_Z_EN: 0
; COMPUTE_PGM_RSRC2:TIDIG_COMP_CNT: 0
; COMPUTE_PGM_RSRC3_GFX90A:ACCUM_OFFSET: 14
; COMPUTE_PGM_RSRC3_GFX90A:TG_SPLIT: 0
	.section	.text._ZN9rocsparseL49gtsv_nopivot_strided_batch_pcr_pow2_shared_kernelILj64E21rocsparse_complex_numIdEEEviiiPKT0_S5_S5_PS3_,"axG",@progbits,_ZN9rocsparseL49gtsv_nopivot_strided_batch_pcr_pow2_shared_kernelILj64E21rocsparse_complex_numIdEEEviiiPKT0_S5_S5_PS3_,comdat
	.globl	_ZN9rocsparseL49gtsv_nopivot_strided_batch_pcr_pow2_shared_kernelILj64E21rocsparse_complex_numIdEEEviiiPKT0_S5_S5_PS3_ ; -- Begin function _ZN9rocsparseL49gtsv_nopivot_strided_batch_pcr_pow2_shared_kernelILj64E21rocsparse_complex_numIdEEEviiiPKT0_S5_S5_PS3_
	.p2align	8
	.type	_ZN9rocsparseL49gtsv_nopivot_strided_batch_pcr_pow2_shared_kernelILj64E21rocsparse_complex_numIdEEEviiiPKT0_S5_S5_PS3_,@function
_ZN9rocsparseL49gtsv_nopivot_strided_batch_pcr_pow2_shared_kernelILj64E21rocsparse_complex_numIdEEEviiiPKT0_S5_S5_PS3_: ; @_ZN9rocsparseL49gtsv_nopivot_strided_batch_pcr_pow2_shared_kernelILj64E21rocsparse_complex_numIdEEEviiiPKT0_S5_S5_PS3_
; %bb.0:
	s_load_dword s3, s[0:1], 0x8
	s_load_dwordx8 s[4:11], s[0:1], 0x10
	v_min_u32_e32 v22, 62, v0
	v_sub_u32_e64 v23, v0, 1 clamp
	v_lshlrev_b32_e32 v1, 4, v0
	s_waitcnt lgkmcnt(0)
	s_mul_i32 s3, s3, s2
	v_add_u32_e32 v2, s3, v0
	v_ashrrev_i32_e32 v3, 31, v2
	v_lshlrev_b64 v[2:3], 4, v[2:3]
	v_lshl_add_u64 v[4:5], s[4:5], 0, v[2:3]
	v_lshl_add_u64 v[14:15], s[6:7], 0, v[2:3]
	global_load_dwordx4 v[6:9], v[4:5], off
	global_load_dwordx4 v[10:13], v[14:15], off
	v_lshl_add_u64 v[4:5], s[8:9], 0, v[2:3]
	global_load_dwordx4 v[14:17], v[4:5], off
	v_lshl_add_u64 v[2:3], s[10:11], 0, v[2:3]
	global_load_dwordx4 v[18:21], v[2:3], off
	v_lshlrev_b32_e32 v42, 4, v23
	v_lshlrev_b32_e32 v50, 4, v22
	v_add_u32_e32 v5, 0x820, v1
	v_add_u32_e32 v4, 0x1040, v1
	s_waitcnt vmcnt(3)
	ds_write2_b64 v1, v[6:7], v[8:9] offset1:1
	s_waitcnt vmcnt(2)
	ds_write2_b64 v1, v[10:11], v[12:13] offset0:130 offset1:131
	s_waitcnt vmcnt(1)
	ds_write2_b64 v5, v[14:15], v[16:17] offset1:1
	s_waitcnt vmcnt(0)
	ds_write2_b64 v4, v[18:19], v[20:21] offset1:1
	s_waitcnt lgkmcnt(0)
	; wave barrier
	ds_read_b128 v[6:9], v42 offset:1040
	ds_read_b128 v[10:13], v1
	ds_read_b128 v[14:17], v1 offset:1040
	ds_read_b128 v[18:21], v50 offset:1056
	;; [unrolled: 1-line block ×7, first 2 shown]
	ds_read_b128 v[42:45], v42
	ds_read_b128 v[46:49], v50 offset:4176
	ds_read_b128 v[50:53], v50 offset:2096
	s_waitcnt lgkmcnt(11)
	v_mul_f64 v[54:55], v[8:9], v[8:9]
	s_waitcnt lgkmcnt(10)
	v_mul_f64 v[56:57], v[8:9], v[12:13]
	v_mul_f64 v[8:9], v[8:9], -v[10:11]
	v_fmac_f64_e32 v[56:57], v[10:11], v[6:7]
	v_fmac_f64_e32 v[8:9], v[12:13], v[6:7]
	s_waitcnt lgkmcnt(8)
	v_mul_f64 v[10:11], v[20:21], v[20:21]
	s_waitcnt lgkmcnt(4)
	v_mul_f64 v[12:13], v[20:21], v[36:37]
	v_fmac_f64_e32 v[54:55], v[6:7], v[6:7]
	v_mul_f64 v[6:7], v[20:21], -v[34:35]
	v_fmac_f64_e32 v[10:11], v[18:19], v[18:19]
	v_fmac_f64_e32 v[12:13], v[34:35], v[18:19]
	;; [unrolled: 1-line block ×3, first 2 shown]
	v_div_scale_f64 v[18:19], s[0:1], v[54:55], v[54:55], 1.0
	v_rcp_f64_e32 v[20:21], v[18:19]
	v_div_scale_f64 v[34:35], vcc, 1.0, v[54:55], 1.0
	v_div_scale_f64 v[36:37], s[0:1], v[10:11], v[10:11], 1.0
	v_fma_f64 v[58:59], -v[18:19], v[20:21], 1.0
	v_fmac_f64_e32 v[20:21], v[20:21], v[58:59]
	v_fma_f64 v[58:59], -v[18:19], v[20:21], 1.0
	v_fmac_f64_e32 v[20:21], v[20:21], v[58:59]
	v_mul_f64 v[58:59], v[34:35], v[20:21]
	v_fma_f64 v[18:19], -v[18:19], v[58:59], v[34:35]
	v_rcp_f64_e32 v[34:35], v[36:37]
	v_div_fmas_f64 v[18:19], v[18:19], v[20:21], v[58:59]
	v_div_scale_f64 v[20:21], vcc, 1.0, v[10:11], 1.0
	v_fma_f64 v[58:59], -v[36:37], v[34:35], 1.0
	v_fmac_f64_e32 v[34:35], v[34:35], v[58:59]
	v_fma_f64 v[58:59], -v[36:37], v[34:35], 1.0
	v_fmac_f64_e32 v[34:35], v[34:35], v[58:59]
	v_mul_f64 v[58:59], v[20:21], v[34:35]
	v_fma_f64 v[20:21], -v[36:37], v[58:59], v[20:21]
	v_div_fixup_f64 v[18:19], v[18:19], v[54:55], 1.0
	v_div_fmas_f64 v[20:21], v[20:21], v[34:35], v[58:59]
	v_mul_f64 v[8:9], v[18:19], v[8:9]
	v_div_fixup_f64 v[10:11], v[20:21], v[10:11], 1.0
	v_mul_f64 v[34:35], v[18:19], v[56:57]
	v_mul_f64 v[12:13], v[10:11], v[12:13]
	;; [unrolled: 1-line block ×3, first 2 shown]
	v_mul_f64 v[10:11], v[8:9], -v[28:29]
	v_mul_f64 v[18:19], v[8:9], v[26:27]
	v_mul_f64 v[20:21], v[8:9], -v[32:33]
	v_mul_f64 v[54:55], v[8:9], v[30:31]
	v_fmac_f64_e32 v[10:11], v[26:27], v[34:35]
	v_fmac_f64_e32 v[18:19], v[28:29], v[34:35]
	v_mul_f64 v[26:27], v[36:37], -v[24:25]
	v_mul_f64 v[28:29], v[36:37], v[22:23]
	s_waitcnt lgkmcnt(2)
	v_mul_f64 v[6:7], v[8:9], v[44:45]
	v_mul_f64 v[8:9], v[8:9], -v[42:43]
	v_fmac_f64_e32 v[20:21], v[30:31], v[34:35]
	v_fmac_f64_e32 v[54:55], v[32:33], v[34:35]
	s_waitcnt lgkmcnt(1)
	v_mul_f64 v[30:31], v[36:37], -v[48:49]
	v_mul_f64 v[32:33], v[36:37], v[46:47]
	v_add_f64 v[14:15], v[14:15], -v[10:11]
	v_add_f64 v[16:17], v[16:17], -v[18:19]
	v_fmac_f64_e32 v[26:27], v[22:23], v[12:13]
	v_fmac_f64_e32 v[28:29], v[24:25], v[12:13]
	v_fma_f64 v[6:7], -v[42:43], v[34:35], v[6:7]
	v_fma_f64 v[8:9], -v[44:45], v[34:35], v[8:9]
	s_waitcnt lgkmcnt(0)
	v_mul_f64 v[34:35], v[36:37], v[52:53]
	v_add_f64 v[18:19], v[38:39], -v[20:21]
	v_add_f64 v[20:21], v[40:41], -v[54:55]
	v_fmac_f64_e32 v[30:31], v[46:47], v[12:13]
	v_fmac_f64_e32 v[32:33], v[48:49], v[12:13]
	v_add_f64 v[14:15], v[14:15], -v[26:27]
	v_add_f64 v[16:17], v[16:17], -v[28:29]
	v_mul_f64 v[22:23], v[36:37], -v[50:51]
	v_fma_f64 v[10:11], -v[50:51], v[12:13], v[34:35]
	v_add_f64 v[18:19], v[18:19], -v[30:31]
	v_add_f64 v[20:21], v[20:21], -v[32:33]
	v_fma_f64 v[12:13], -v[52:53], v[12:13], v[22:23]
	; wave barrier
	ds_write_b128 v1, v[14:17] offset:1040
	ds_write_b128 v1, v[18:21] offset:4160
	ds_write_b128 v1, v[6:9]
	ds_write_b128 v1, v[10:13] offset:2080
	v_sub_u32_e64 v6, v0, 2 clamp
	v_lshlrev_b32_e32 v42, 4, v6
	s_waitcnt lgkmcnt(0)
	; wave barrier
	ds_read_b128 v[6:9], v42 offset:1040
	ds_read_b128 v[10:13], v42
	v_min_u32_e32 v28, 61, v0
	ds_read_b128 v[14:17], v1
	v_lshlrev_b32_e32 v43, 4, v28
	s_waitcnt lgkmcnt(2)
	v_mul_f64 v[18:19], v[8:9], v[8:9]
	v_fmac_f64_e32 v[18:19], v[6:7], v[6:7]
	v_div_scale_f64 v[20:21], s[0:1], v[18:19], v[18:19], 1.0
	v_rcp_f64_e32 v[22:23], v[20:21]
	s_nop 0
	v_fma_f64 v[24:25], -v[20:21], v[22:23], 1.0
	v_fmac_f64_e32 v[22:23], v[22:23], v[24:25]
	v_fma_f64 v[24:25], -v[20:21], v[22:23], 1.0
	v_fmac_f64_e32 v[22:23], v[22:23], v[24:25]
	v_div_scale_f64 v[24:25], vcc, 1.0, v[18:19], 1.0
	v_mul_f64 v[26:27], v[24:25], v[22:23]
	v_fma_f64 v[20:21], -v[20:21], v[26:27], v[24:25]
	s_nop 1
	v_div_fmas_f64 v[20:21], v[20:21], v[22:23], v[26:27]
	ds_read_b128 v[22:25], v43 offset:1072
	v_div_fixup_f64 v[30:31], v[20:21], v[18:19], 1.0
	ds_read_b128 v[18:21], v1 offset:1040
	s_waitcnt lgkmcnt(2)
	v_mul_f64 v[26:27], v[8:9], v[16:17]
	v_fmac_f64_e32 v[26:27], v[14:15], v[6:7]
	v_mul_f64 v[34:35], v[30:31], v[26:27]
	v_mul_f64 v[8:9], v[8:9], -v[14:15]
	ds_read_b128 v[26:29], v43 offset:32
	s_waitcnt lgkmcnt(2)
	v_mul_f64 v[14:15], v[24:25], v[24:25]
	v_fmac_f64_e32 v[14:15], v[22:23], v[22:23]
	v_div_scale_f64 v[32:33], s[0:1], v[14:15], v[14:15], 1.0
	v_rcp_f64_e32 v[36:37], v[32:33]
	v_fmac_f64_e32 v[8:9], v[16:17], v[6:7]
	v_mul_f64 v[38:39], v[30:31], v[8:9]
	ds_read_b128 v[6:9], v1 offset:2080
	v_fma_f64 v[16:17], -v[32:33], v[36:37], 1.0
	v_fmac_f64_e32 v[36:37], v[36:37], v[16:17]
	v_fma_f64 v[16:17], -v[32:33], v[36:37], 1.0
	v_fmac_f64_e32 v[36:37], v[36:37], v[16:17]
	v_div_scale_f64 v[16:17], vcc, 1.0, v[14:15], 1.0
	v_mul_f64 v[30:31], v[16:17], v[36:37]
	v_fma_f64 v[16:17], -v[32:33], v[30:31], v[16:17]
	s_nop 1
	v_div_fmas_f64 v[16:17], v[16:17], v[36:37], v[30:31]
	v_div_fixup_f64 v[36:37], v[16:17], v[14:15], 1.0
	ds_read_b128 v[14:17], v1 offset:4160
	s_waitcnt lgkmcnt(1)
	v_mul_f64 v[30:31], v[24:25], v[8:9]
	v_fmac_f64_e32 v[30:31], v[6:7], v[22:23]
	v_mul_f64 v[40:41], v[36:37], v[30:31]
	ds_read_b128 v[30:33], v42 offset:2080
	v_mul_f64 v[6:7], v[24:25], -v[6:7]
	v_fmac_f64_e32 v[6:7], v[8:9], v[22:23]
	v_mul_f64 v[36:37], v[36:37], v[6:7]
	ds_read_b128 v[6:9], v42 offset:4160
	s_waitcnt lgkmcnt(1)
	v_mul_f64 v[22:23], v[38:39], -v[32:33]
	v_mul_f64 v[24:25], v[38:39], v[30:31]
	v_fmac_f64_e32 v[22:23], v[30:31], v[34:35]
	v_fmac_f64_e32 v[24:25], v[32:33], v[34:35]
	v_add_f64 v[18:19], v[18:19], -v[22:23]
	v_add_f64 v[20:21], v[20:21], -v[24:25]
	v_mul_f64 v[22:23], v[36:37], -v[28:29]
	v_mul_f64 v[24:25], v[36:37], v[26:27]
	v_fmac_f64_e32 v[22:23], v[26:27], v[40:41]
	v_fmac_f64_e32 v[24:25], v[28:29], v[40:41]
	v_add_f64 v[18:19], v[18:19], -v[22:23]
	v_add_f64 v[20:21], v[20:21], -v[24:25]
	ds_read_b128 v[22:25], v43 offset:4192
	s_waitcnt lgkmcnt(1)
	v_mul_f64 v[26:27], v[38:39], -v[8:9]
	v_fmac_f64_e32 v[26:27], v[6:7], v[34:35]
	v_mul_f64 v[6:7], v[38:39], v[6:7]
	v_fmac_f64_e32 v[6:7], v[8:9], v[34:35]
	v_add_f64 v[14:15], v[14:15], -v[26:27]
	v_add_f64 v[16:17], v[16:17], -v[6:7]
	ds_read_b128 v[6:9], v43 offset:2112
	s_waitcnt lgkmcnt(1)
	v_mul_f64 v[26:27], v[36:37], -v[24:25]
	v_fmac_f64_e32 v[26:27], v[22:23], v[40:41]
	v_mul_f64 v[22:23], v[36:37], v[22:23]
	v_fmac_f64_e32 v[22:23], v[24:25], v[40:41]
	v_add_f64 v[16:17], v[16:17], -v[22:23]
	v_mul_f64 v[22:23], v[38:39], v[12:13]
	v_fma_f64 v[22:23], -v[10:11], v[34:35], v[22:23]
	v_mul_f64 v[10:11], v[38:39], -v[10:11]
	v_fma_f64 v[24:25], -v[12:13], v[34:35], v[10:11]
	s_waitcnt lgkmcnt(0)
	v_mul_f64 v[10:11], v[36:37], v[8:9]
	v_fma_f64 v[10:11], -v[6:7], v[40:41], v[10:11]
	v_mul_f64 v[6:7], v[36:37], -v[6:7]
	v_fma_f64 v[12:13], -v[8:9], v[40:41], v[6:7]
	v_sub_u32_e64 v6, v0, 4 clamp
	v_lshlrev_b32_e32 v42, 4, v6
	v_add_f64 v[14:15], v[14:15], -v[26:27]
	; wave barrier
	ds_write_b128 v1, v[18:21] offset:1040
	ds_write_b128 v1, v[14:17] offset:4160
	ds_write_b128 v1, v[22:25]
	ds_write_b128 v1, v[10:13] offset:2080
	s_waitcnt lgkmcnt(0)
	; wave barrier
	ds_read_b128 v[6:9], v42 offset:1040
	ds_read_b128 v[10:13], v42
	v_min_u32_e32 v28, 59, v0
	ds_read_b128 v[14:17], v1
	v_lshlrev_b32_e32 v43, 4, v28
	s_waitcnt lgkmcnt(2)
	v_mul_f64 v[18:19], v[8:9], v[8:9]
	v_fmac_f64_e32 v[18:19], v[6:7], v[6:7]
	v_div_scale_f64 v[20:21], s[0:1], v[18:19], v[18:19], 1.0
	v_rcp_f64_e32 v[22:23], v[20:21]
	s_nop 0
	v_fma_f64 v[24:25], -v[20:21], v[22:23], 1.0
	v_fmac_f64_e32 v[22:23], v[22:23], v[24:25]
	v_fma_f64 v[24:25], -v[20:21], v[22:23], 1.0
	v_fmac_f64_e32 v[22:23], v[22:23], v[24:25]
	v_div_scale_f64 v[24:25], vcc, 1.0, v[18:19], 1.0
	v_mul_f64 v[26:27], v[24:25], v[22:23]
	v_fma_f64 v[20:21], -v[20:21], v[26:27], v[24:25]
	s_nop 1
	v_div_fmas_f64 v[20:21], v[20:21], v[22:23], v[26:27]
	ds_read_b128 v[22:25], v43 offset:1104
	v_div_fixup_f64 v[30:31], v[20:21], v[18:19], 1.0
	ds_read_b128 v[18:21], v1 offset:1040
	s_waitcnt lgkmcnt(2)
	v_mul_f64 v[26:27], v[8:9], v[16:17]
	v_fmac_f64_e32 v[26:27], v[14:15], v[6:7]
	v_mul_f64 v[34:35], v[30:31], v[26:27]
	v_mul_f64 v[8:9], v[8:9], -v[14:15]
	ds_read_b128 v[26:29], v43 offset:64
	s_waitcnt lgkmcnt(2)
	v_mul_f64 v[14:15], v[24:25], v[24:25]
	v_fmac_f64_e32 v[14:15], v[22:23], v[22:23]
	v_div_scale_f64 v[32:33], s[0:1], v[14:15], v[14:15], 1.0
	v_rcp_f64_e32 v[36:37], v[32:33]
	v_fmac_f64_e32 v[8:9], v[16:17], v[6:7]
	v_mul_f64 v[38:39], v[30:31], v[8:9]
	ds_read_b128 v[6:9], v1 offset:2080
	v_fma_f64 v[16:17], -v[32:33], v[36:37], 1.0
	v_fmac_f64_e32 v[36:37], v[36:37], v[16:17]
	v_fma_f64 v[16:17], -v[32:33], v[36:37], 1.0
	v_fmac_f64_e32 v[36:37], v[36:37], v[16:17]
	v_div_scale_f64 v[16:17], vcc, 1.0, v[14:15], 1.0
	v_mul_f64 v[30:31], v[16:17], v[36:37]
	v_fma_f64 v[16:17], -v[32:33], v[30:31], v[16:17]
	s_nop 1
	v_div_fmas_f64 v[16:17], v[16:17], v[36:37], v[30:31]
	v_div_fixup_f64 v[36:37], v[16:17], v[14:15], 1.0
	ds_read_b128 v[14:17], v1 offset:4160
	s_waitcnt lgkmcnt(1)
	v_mul_f64 v[30:31], v[24:25], v[8:9]
	v_fmac_f64_e32 v[30:31], v[6:7], v[22:23]
	v_mul_f64 v[40:41], v[36:37], v[30:31]
	ds_read_b128 v[30:33], v42 offset:2080
	v_mul_f64 v[6:7], v[24:25], -v[6:7]
	v_fmac_f64_e32 v[6:7], v[8:9], v[22:23]
	v_mul_f64 v[36:37], v[36:37], v[6:7]
	ds_read_b128 v[6:9], v42 offset:4160
	s_waitcnt lgkmcnt(1)
	v_mul_f64 v[22:23], v[38:39], -v[32:33]
	v_mul_f64 v[24:25], v[38:39], v[30:31]
	v_fmac_f64_e32 v[22:23], v[30:31], v[34:35]
	v_fmac_f64_e32 v[24:25], v[32:33], v[34:35]
	v_add_f64 v[18:19], v[18:19], -v[22:23]
	v_add_f64 v[20:21], v[20:21], -v[24:25]
	v_mul_f64 v[22:23], v[36:37], -v[28:29]
	v_mul_f64 v[24:25], v[36:37], v[26:27]
	v_fmac_f64_e32 v[22:23], v[26:27], v[40:41]
	v_fmac_f64_e32 v[24:25], v[28:29], v[40:41]
	v_add_f64 v[18:19], v[18:19], -v[22:23]
	v_add_f64 v[20:21], v[20:21], -v[24:25]
	ds_read_b128 v[22:25], v43 offset:4224
	s_waitcnt lgkmcnt(1)
	v_mul_f64 v[26:27], v[38:39], -v[8:9]
	v_fmac_f64_e32 v[26:27], v[6:7], v[34:35]
	v_mul_f64 v[6:7], v[38:39], v[6:7]
	v_fmac_f64_e32 v[6:7], v[8:9], v[34:35]
	v_add_f64 v[14:15], v[14:15], -v[26:27]
	v_add_f64 v[16:17], v[16:17], -v[6:7]
	ds_read_b128 v[6:9], v43 offset:2144
	s_waitcnt lgkmcnt(1)
	v_mul_f64 v[26:27], v[36:37], -v[24:25]
	v_fmac_f64_e32 v[26:27], v[22:23], v[40:41]
	v_mul_f64 v[22:23], v[36:37], v[22:23]
	v_fmac_f64_e32 v[22:23], v[24:25], v[40:41]
	v_add_f64 v[16:17], v[16:17], -v[22:23]
	v_mul_f64 v[22:23], v[38:39], v[12:13]
	v_fma_f64 v[22:23], -v[10:11], v[34:35], v[22:23]
	v_mul_f64 v[10:11], v[38:39], -v[10:11]
	v_fma_f64 v[24:25], -v[12:13], v[34:35], v[10:11]
	s_waitcnt lgkmcnt(0)
	v_mul_f64 v[10:11], v[36:37], v[8:9]
	v_fma_f64 v[10:11], -v[6:7], v[40:41], v[10:11]
	v_mul_f64 v[6:7], v[36:37], -v[6:7]
	v_fma_f64 v[12:13], -v[8:9], v[40:41], v[6:7]
	v_sub_u32_e64 v6, v0, 8 clamp
	v_lshlrev_b32_e32 v42, 4, v6
	v_add_f64 v[14:15], v[14:15], -v[26:27]
	; wave barrier
	ds_write_b128 v1, v[18:21] offset:1040
	ds_write_b128 v1, v[14:17] offset:4160
	ds_write_b128 v1, v[22:25]
	ds_write_b128 v1, v[10:13] offset:2080
	s_waitcnt lgkmcnt(0)
	; wave barrier
	ds_read_b128 v[6:9], v42 offset:1040
	ds_read_b128 v[10:13], v42
	v_min_u32_e32 v28, 55, v0
	ds_read_b128 v[14:17], v1
	v_lshlrev_b32_e32 v43, 4, v28
	s_waitcnt lgkmcnt(2)
	v_mul_f64 v[18:19], v[8:9], v[8:9]
	v_fmac_f64_e32 v[18:19], v[6:7], v[6:7]
	v_div_scale_f64 v[20:21], s[0:1], v[18:19], v[18:19], 1.0
	v_rcp_f64_e32 v[22:23], v[20:21]
	s_nop 0
	v_fma_f64 v[24:25], -v[20:21], v[22:23], 1.0
	v_fmac_f64_e32 v[22:23], v[22:23], v[24:25]
	v_fma_f64 v[24:25], -v[20:21], v[22:23], 1.0
	v_fmac_f64_e32 v[22:23], v[22:23], v[24:25]
	v_div_scale_f64 v[24:25], vcc, 1.0, v[18:19], 1.0
	v_mul_f64 v[26:27], v[24:25], v[22:23]
	v_fma_f64 v[20:21], -v[20:21], v[26:27], v[24:25]
	s_nop 1
	v_div_fmas_f64 v[20:21], v[20:21], v[22:23], v[26:27]
	ds_read_b128 v[22:25], v43 offset:1168
	v_div_fixup_f64 v[30:31], v[20:21], v[18:19], 1.0
	ds_read_b128 v[18:21], v1 offset:1040
	s_waitcnt lgkmcnt(2)
	v_mul_f64 v[26:27], v[8:9], v[16:17]
	v_fmac_f64_e32 v[26:27], v[14:15], v[6:7]
	v_mul_f64 v[34:35], v[30:31], v[26:27]
	v_mul_f64 v[8:9], v[8:9], -v[14:15]
	ds_read_b128 v[26:29], v43 offset:128
	s_waitcnt lgkmcnt(2)
	v_mul_f64 v[14:15], v[24:25], v[24:25]
	v_fmac_f64_e32 v[14:15], v[22:23], v[22:23]
	v_div_scale_f64 v[32:33], s[0:1], v[14:15], v[14:15], 1.0
	v_rcp_f64_e32 v[36:37], v[32:33]
	v_fmac_f64_e32 v[8:9], v[16:17], v[6:7]
	v_mul_f64 v[38:39], v[30:31], v[8:9]
	ds_read_b128 v[6:9], v1 offset:2080
	v_fma_f64 v[16:17], -v[32:33], v[36:37], 1.0
	v_fmac_f64_e32 v[36:37], v[36:37], v[16:17]
	v_fma_f64 v[16:17], -v[32:33], v[36:37], 1.0
	v_fmac_f64_e32 v[36:37], v[36:37], v[16:17]
	v_div_scale_f64 v[16:17], vcc, 1.0, v[14:15], 1.0
	v_mul_f64 v[30:31], v[16:17], v[36:37]
	v_fma_f64 v[16:17], -v[32:33], v[30:31], v[16:17]
	s_nop 1
	v_div_fmas_f64 v[16:17], v[16:17], v[36:37], v[30:31]
	v_div_fixup_f64 v[36:37], v[16:17], v[14:15], 1.0
	ds_read_b128 v[14:17], v1 offset:4160
	s_waitcnt lgkmcnt(1)
	v_mul_f64 v[30:31], v[24:25], v[8:9]
	v_fmac_f64_e32 v[30:31], v[6:7], v[22:23]
	v_mul_f64 v[40:41], v[36:37], v[30:31]
	ds_read_b128 v[30:33], v42 offset:2080
	v_mul_f64 v[6:7], v[24:25], -v[6:7]
	v_fmac_f64_e32 v[6:7], v[8:9], v[22:23]
	v_mul_f64 v[36:37], v[36:37], v[6:7]
	ds_read_b128 v[6:9], v42 offset:4160
	s_waitcnt lgkmcnt(1)
	v_mul_f64 v[22:23], v[38:39], -v[32:33]
	v_mul_f64 v[24:25], v[38:39], v[30:31]
	v_fmac_f64_e32 v[22:23], v[30:31], v[34:35]
	v_fmac_f64_e32 v[24:25], v[32:33], v[34:35]
	v_add_f64 v[18:19], v[18:19], -v[22:23]
	v_add_f64 v[20:21], v[20:21], -v[24:25]
	v_mul_f64 v[22:23], v[36:37], -v[28:29]
	v_mul_f64 v[24:25], v[36:37], v[26:27]
	v_fmac_f64_e32 v[22:23], v[26:27], v[40:41]
	v_fmac_f64_e32 v[24:25], v[28:29], v[40:41]
	v_add_f64 v[18:19], v[18:19], -v[22:23]
	v_add_f64 v[20:21], v[20:21], -v[24:25]
	ds_read_b128 v[22:25], v43 offset:4288
	s_waitcnt lgkmcnt(1)
	v_mul_f64 v[26:27], v[38:39], -v[8:9]
	v_fmac_f64_e32 v[26:27], v[6:7], v[34:35]
	v_mul_f64 v[6:7], v[38:39], v[6:7]
	v_fmac_f64_e32 v[6:7], v[8:9], v[34:35]
	v_add_f64 v[14:15], v[14:15], -v[26:27]
	v_add_f64 v[16:17], v[16:17], -v[6:7]
	ds_read_b128 v[6:9], v43 offset:2208
	s_waitcnt lgkmcnt(1)
	v_mul_f64 v[26:27], v[36:37], -v[24:25]
	v_fmac_f64_e32 v[26:27], v[22:23], v[40:41]
	v_mul_f64 v[22:23], v[36:37], v[22:23]
	v_fmac_f64_e32 v[22:23], v[24:25], v[40:41]
	v_add_f64 v[16:17], v[16:17], -v[22:23]
	v_mul_f64 v[22:23], v[38:39], v[12:13]
	v_fma_f64 v[22:23], -v[10:11], v[34:35], v[22:23]
	v_mul_f64 v[10:11], v[38:39], -v[10:11]
	v_fma_f64 v[24:25], -v[12:13], v[34:35], v[10:11]
	s_waitcnt lgkmcnt(0)
	v_mul_f64 v[10:11], v[36:37], v[8:9]
	v_fma_f64 v[10:11], -v[6:7], v[40:41], v[10:11]
	v_mul_f64 v[6:7], v[36:37], -v[6:7]
	v_fma_f64 v[12:13], -v[8:9], v[40:41], v[6:7]
	v_sub_u32_e64 v6, v0, 16 clamp
	v_lshlrev_b32_e32 v42, 4, v6
	v_add_f64 v[14:15], v[14:15], -v[26:27]
	; wave barrier
	ds_write_b128 v1, v[18:21] offset:1040
	ds_write_b128 v1, v[14:17] offset:4160
	ds_write_b128 v1, v[22:25]
	ds_write_b128 v1, v[10:13] offset:2080
	s_waitcnt lgkmcnt(0)
	; wave barrier
	ds_read_b128 v[6:9], v42 offset:1040
	ds_read_b128 v[10:13], v42
	v_min_u32_e32 v28, 47, v0
	ds_read_b128 v[14:17], v1
	v_lshlrev_b32_e32 v43, 4, v28
	s_waitcnt lgkmcnt(2)
	v_mul_f64 v[18:19], v[8:9], v[8:9]
	v_fmac_f64_e32 v[18:19], v[6:7], v[6:7]
	v_div_scale_f64 v[20:21], s[0:1], v[18:19], v[18:19], 1.0
	v_rcp_f64_e32 v[22:23], v[20:21]
	s_nop 0
	v_fma_f64 v[24:25], -v[20:21], v[22:23], 1.0
	v_fmac_f64_e32 v[22:23], v[22:23], v[24:25]
	v_fma_f64 v[24:25], -v[20:21], v[22:23], 1.0
	v_fmac_f64_e32 v[22:23], v[22:23], v[24:25]
	v_div_scale_f64 v[24:25], vcc, 1.0, v[18:19], 1.0
	v_mul_f64 v[26:27], v[24:25], v[22:23]
	v_fma_f64 v[20:21], -v[20:21], v[26:27], v[24:25]
	s_nop 1
	v_div_fmas_f64 v[20:21], v[20:21], v[22:23], v[26:27]
	ds_read_b128 v[22:25], v43 offset:1296
	v_div_fixup_f64 v[30:31], v[20:21], v[18:19], 1.0
	ds_read_b128 v[18:21], v1 offset:1040
	s_waitcnt lgkmcnt(2)
	v_mul_f64 v[26:27], v[8:9], v[16:17]
	v_fmac_f64_e32 v[26:27], v[14:15], v[6:7]
	v_mul_f64 v[34:35], v[30:31], v[26:27]
	v_mul_f64 v[8:9], v[8:9], -v[14:15]
	ds_read_b128 v[26:29], v43 offset:256
	s_waitcnt lgkmcnt(2)
	v_mul_f64 v[14:15], v[24:25], v[24:25]
	v_fmac_f64_e32 v[14:15], v[22:23], v[22:23]
	v_div_scale_f64 v[32:33], s[0:1], v[14:15], v[14:15], 1.0
	v_rcp_f64_e32 v[36:37], v[32:33]
	v_fmac_f64_e32 v[8:9], v[16:17], v[6:7]
	v_mul_f64 v[38:39], v[30:31], v[8:9]
	ds_read_b128 v[6:9], v1 offset:2080
	v_fma_f64 v[16:17], -v[32:33], v[36:37], 1.0
	v_fmac_f64_e32 v[36:37], v[36:37], v[16:17]
	v_fma_f64 v[16:17], -v[32:33], v[36:37], 1.0
	v_fmac_f64_e32 v[36:37], v[36:37], v[16:17]
	v_div_scale_f64 v[16:17], vcc, 1.0, v[14:15], 1.0
	v_mul_f64 v[30:31], v[16:17], v[36:37]
	v_fma_f64 v[16:17], -v[32:33], v[30:31], v[16:17]
	s_nop 1
	v_div_fmas_f64 v[16:17], v[16:17], v[36:37], v[30:31]
	v_div_fixup_f64 v[36:37], v[16:17], v[14:15], 1.0
	ds_read_b128 v[14:17], v1 offset:4160
	s_waitcnt lgkmcnt(1)
	v_mul_f64 v[30:31], v[24:25], v[8:9]
	v_fmac_f64_e32 v[30:31], v[6:7], v[22:23]
	v_mul_f64 v[40:41], v[36:37], v[30:31]
	ds_read_b128 v[30:33], v42 offset:2080
	v_mul_f64 v[6:7], v[24:25], -v[6:7]
	v_fmac_f64_e32 v[6:7], v[8:9], v[22:23]
	v_mul_f64 v[36:37], v[36:37], v[6:7]
	ds_read_b128 v[6:9], v42 offset:4160
	s_waitcnt lgkmcnt(1)
	v_mul_f64 v[22:23], v[38:39], -v[32:33]
	v_mul_f64 v[24:25], v[38:39], v[30:31]
	v_fmac_f64_e32 v[22:23], v[30:31], v[34:35]
	v_fmac_f64_e32 v[24:25], v[32:33], v[34:35]
	v_add_f64 v[18:19], v[18:19], -v[22:23]
	v_add_f64 v[20:21], v[20:21], -v[24:25]
	v_mul_f64 v[22:23], v[36:37], -v[28:29]
	v_mul_f64 v[24:25], v[36:37], v[26:27]
	v_fmac_f64_e32 v[22:23], v[26:27], v[40:41]
	v_fmac_f64_e32 v[24:25], v[28:29], v[40:41]
	v_add_f64 v[18:19], v[18:19], -v[22:23]
	v_add_f64 v[20:21], v[20:21], -v[24:25]
	ds_read_b128 v[22:25], v43 offset:4416
	s_waitcnt lgkmcnt(1)
	v_mul_f64 v[26:27], v[38:39], -v[8:9]
	v_fmac_f64_e32 v[26:27], v[6:7], v[34:35]
	v_mul_f64 v[6:7], v[38:39], v[6:7]
	v_fmac_f64_e32 v[6:7], v[8:9], v[34:35]
	v_add_f64 v[14:15], v[14:15], -v[26:27]
	v_add_f64 v[16:17], v[16:17], -v[6:7]
	ds_read_b128 v[6:9], v43 offset:2336
	s_waitcnt lgkmcnt(1)
	v_mul_f64 v[26:27], v[36:37], -v[24:25]
	v_fmac_f64_e32 v[26:27], v[22:23], v[40:41]
	v_mul_f64 v[22:23], v[36:37], v[22:23]
	v_fmac_f64_e32 v[22:23], v[24:25], v[40:41]
	v_add_f64 v[16:17], v[16:17], -v[22:23]
	v_mul_f64 v[22:23], v[38:39], v[12:13]
	v_fma_f64 v[22:23], -v[10:11], v[34:35], v[22:23]
	v_mul_f64 v[10:11], v[38:39], -v[10:11]
	v_fma_f64 v[24:25], -v[12:13], v[34:35], v[10:11]
	s_waitcnt lgkmcnt(0)
	v_mul_f64 v[10:11], v[36:37], v[8:9]
	v_fma_f64 v[10:11], -v[6:7], v[40:41], v[10:11]
	v_mul_f64 v[6:7], v[36:37], -v[6:7]
	v_cmp_gt_u32_e32 vcc, 32, v0
	v_add_f64 v[14:15], v[14:15], -v[26:27]
	v_fma_f64 v[12:13], -v[8:9], v[40:41], v[6:7]
	; wave barrier
	ds_write_b128 v1, v[18:21] offset:1040
	ds_write_b128 v1, v[14:17] offset:4160
	ds_write_b128 v1, v[22:25]
	ds_write_b128 v1, v[10:13] offset:2080
	s_waitcnt lgkmcnt(0)
	; wave barrier
	s_and_saveexec_b64 s[0:1], vcc
	s_cbranch_execz .LBB68_2
; %bb.1:
	v_add_u32_e32 v10, 0x410, v1
	ds_read_b128 v[6:9], v10 offset:512
	ds_read_b128 v[10:13], v10
	ds_read_b128 v[14:17], v1 offset:512
	ds_read_b128 v[18:21], v5
	s_waitcnt lgkmcnt(2)
	v_mul_f64 v[24:25], v[12:13], v[6:7]
	v_mul_f64 v[22:23], v[12:13], -v[8:9]
	s_waitcnt lgkmcnt(0)
	v_mul_f64 v[28:29], v[16:17], v[18:19]
	v_fmac_f64_e32 v[24:25], v[8:9], v[10:11]
	v_mul_f64 v[26:27], v[16:17], -v[20:21]
	v_fmac_f64_e32 v[28:29], v[20:21], v[14:15]
	v_fmac_f64_e32 v[22:23], v[6:7], v[10:11]
	;; [unrolled: 1-line block ×3, first 2 shown]
	v_add_f64 v[28:29], v[24:25], -v[28:29]
	v_add_f64 v[26:27], v[22:23], -v[26:27]
	v_mul_f64 v[22:23], v[28:29], v[28:29]
	v_fmac_f64_e32 v[22:23], v[26:27], v[26:27]
	v_div_scale_f64 v[24:25], s[2:3], v[22:23], v[22:23], 1.0
	v_rcp_f64_e32 v[30:31], v[24:25]
	s_nop 0
	v_fma_f64 v[32:33], -v[24:25], v[30:31], 1.0
	v_fmac_f64_e32 v[30:31], v[30:31], v[32:33]
	v_fma_f64 v[32:33], -v[24:25], v[30:31], 1.0
	v_fmac_f64_e32 v[30:31], v[30:31], v[32:33]
	v_div_scale_f64 v[32:33], vcc, 1.0, v[22:23], 1.0
	v_mul_f64 v[34:35], v[32:33], v[30:31]
	v_fma_f64 v[24:25], -v[24:25], v[34:35], v[32:33]
	v_fma_f64 v[32:33], 0, v[28:29], v[26:27]
	s_nop 0
	v_div_fmas_f64 v[24:25], v[24:25], v[30:31], v[34:35]
	v_div_fixup_f64 v[30:31], v[24:25], v[22:23], 1.0
	ds_read_b128 v[22:25], v4
	v_fma_f64 v[26:27], v[26:27], 0, -v[28:29]
	v_mul_f64 v[32:33], v[32:33], v[30:31]
	v_mul_f64 v[30:31], v[26:27], v[30:31]
	ds_read_b128 v[26:29], v4 offset:512
	s_waitcnt lgkmcnt(1)
	v_mul_f64 v[4:5], v[24:25], -v[8:9]
	v_fmac_f64_e32 v[4:5], v[6:7], v[22:23]
	v_mul_f64 v[6:7], v[6:7], v[24:25]
	v_fmac_f64_e32 v[6:7], v[8:9], v[22:23]
	s_waitcnt lgkmcnt(0)
	v_mul_f64 v[8:9], v[28:29], -v[20:21]
	v_fmac_f64_e32 v[8:9], v[18:19], v[26:27]
	v_mul_f64 v[18:19], v[18:19], v[28:29]
	v_fmac_f64_e32 v[18:19], v[20:21], v[26:27]
	v_add_f64 v[8:9], v[4:5], -v[8:9]
	v_add_f64 v[18:19], v[6:7], -v[18:19]
	v_mul_f64 v[4:5], v[30:31], -v[18:19]
	v_mul_f64 v[6:7], v[30:31], v[8:9]
	v_fmac_f64_e32 v[4:5], v[8:9], v[32:33]
	v_fmac_f64_e32 v[6:7], v[18:19], v[32:33]
	ds_write_b128 v1, v[4:7] offset:3120
	v_mul_f64 v[4:5], v[12:13], -v[28:29]
	v_mul_f64 v[6:7], v[12:13], v[26:27]
	v_fmac_f64_e32 v[4:5], v[26:27], v[10:11]
	v_fmac_f64_e32 v[6:7], v[28:29], v[10:11]
	v_mul_f64 v[8:9], v[16:17], -v[24:25]
	v_mul_f64 v[10:11], v[16:17], v[22:23]
	v_fmac_f64_e32 v[8:9], v[22:23], v[14:15]
	v_fmac_f64_e32 v[10:11], v[24:25], v[14:15]
	v_add_f64 v[8:9], v[4:5], -v[8:9]
	v_add_f64 v[10:11], v[6:7], -v[10:11]
	v_mul_f64 v[4:5], v[30:31], -v[10:11]
	v_mul_f64 v[6:7], v[30:31], v[8:9]
	v_fmac_f64_e32 v[4:5], v[8:9], v[32:33]
	v_fmac_f64_e32 v[6:7], v[10:11], v[32:33]
	ds_write_b128 v1, v[4:7] offset:3632
.LBB68_2:
	s_or_b64 exec, exec, s[0:1]
	v_mov_b32_e32 v1, 0xc30
	v_lshl_add_u32 v0, v0, 4, v1
	s_waitcnt lgkmcnt(0)
	; wave barrier
	ds_read2_b64 v[4:7], v0 offset1:1
	s_waitcnt lgkmcnt(0)
	global_store_dwordx4 v[2:3], v[4:7], off
	s_endpgm
	.section	.rodata,"a",@progbits
	.p2align	6, 0x0
	.amdhsa_kernel _ZN9rocsparseL49gtsv_nopivot_strided_batch_pcr_pow2_shared_kernelILj64E21rocsparse_complex_numIdEEEviiiPKT0_S5_S5_PS3_
		.amdhsa_group_segment_fixed_size 5200
		.amdhsa_private_segment_fixed_size 0
		.amdhsa_kernarg_size 48
		.amdhsa_user_sgpr_count 2
		.amdhsa_user_sgpr_dispatch_ptr 0
		.amdhsa_user_sgpr_queue_ptr 0
		.amdhsa_user_sgpr_kernarg_segment_ptr 1
		.amdhsa_user_sgpr_dispatch_id 0
		.amdhsa_user_sgpr_kernarg_preload_length 0
		.amdhsa_user_sgpr_kernarg_preload_offset 0
		.amdhsa_user_sgpr_private_segment_size 0
		.amdhsa_uses_dynamic_stack 0
		.amdhsa_enable_private_segment 0
		.amdhsa_system_sgpr_workgroup_id_x 1
		.amdhsa_system_sgpr_workgroup_id_y 0
		.amdhsa_system_sgpr_workgroup_id_z 0
		.amdhsa_system_sgpr_workgroup_info 0
		.amdhsa_system_vgpr_workitem_id 0
		.amdhsa_next_free_vgpr 60
		.amdhsa_next_free_sgpr 12
		.amdhsa_accum_offset 60
		.amdhsa_reserve_vcc 1
		.amdhsa_float_round_mode_32 0
		.amdhsa_float_round_mode_16_64 0
		.amdhsa_float_denorm_mode_32 3
		.amdhsa_float_denorm_mode_16_64 3
		.amdhsa_dx10_clamp 1
		.amdhsa_ieee_mode 1
		.amdhsa_fp16_overflow 0
		.amdhsa_tg_split 0
		.amdhsa_exception_fp_ieee_invalid_op 0
		.amdhsa_exception_fp_denorm_src 0
		.amdhsa_exception_fp_ieee_div_zero 0
		.amdhsa_exception_fp_ieee_overflow 0
		.amdhsa_exception_fp_ieee_underflow 0
		.amdhsa_exception_fp_ieee_inexact 0
		.amdhsa_exception_int_div_zero 0
	.end_amdhsa_kernel
	.section	.text._ZN9rocsparseL49gtsv_nopivot_strided_batch_pcr_pow2_shared_kernelILj64E21rocsparse_complex_numIdEEEviiiPKT0_S5_S5_PS3_,"axG",@progbits,_ZN9rocsparseL49gtsv_nopivot_strided_batch_pcr_pow2_shared_kernelILj64E21rocsparse_complex_numIdEEEviiiPKT0_S5_S5_PS3_,comdat
.Lfunc_end68:
	.size	_ZN9rocsparseL49gtsv_nopivot_strided_batch_pcr_pow2_shared_kernelILj64E21rocsparse_complex_numIdEEEviiiPKT0_S5_S5_PS3_, .Lfunc_end68-_ZN9rocsparseL49gtsv_nopivot_strided_batch_pcr_pow2_shared_kernelILj64E21rocsparse_complex_numIdEEEviiiPKT0_S5_S5_PS3_
                                        ; -- End function
	.set _ZN9rocsparseL49gtsv_nopivot_strided_batch_pcr_pow2_shared_kernelILj64E21rocsparse_complex_numIdEEEviiiPKT0_S5_S5_PS3_.num_vgpr, 60
	.set _ZN9rocsparseL49gtsv_nopivot_strided_batch_pcr_pow2_shared_kernelILj64E21rocsparse_complex_numIdEEEviiiPKT0_S5_S5_PS3_.num_agpr, 0
	.set _ZN9rocsparseL49gtsv_nopivot_strided_batch_pcr_pow2_shared_kernelILj64E21rocsparse_complex_numIdEEEviiiPKT0_S5_S5_PS3_.numbered_sgpr, 12
	.set _ZN9rocsparseL49gtsv_nopivot_strided_batch_pcr_pow2_shared_kernelILj64E21rocsparse_complex_numIdEEEviiiPKT0_S5_S5_PS3_.num_named_barrier, 0
	.set _ZN9rocsparseL49gtsv_nopivot_strided_batch_pcr_pow2_shared_kernelILj64E21rocsparse_complex_numIdEEEviiiPKT0_S5_S5_PS3_.private_seg_size, 0
	.set _ZN9rocsparseL49gtsv_nopivot_strided_batch_pcr_pow2_shared_kernelILj64E21rocsparse_complex_numIdEEEviiiPKT0_S5_S5_PS3_.uses_vcc, 1
	.set _ZN9rocsparseL49gtsv_nopivot_strided_batch_pcr_pow2_shared_kernelILj64E21rocsparse_complex_numIdEEEviiiPKT0_S5_S5_PS3_.uses_flat_scratch, 0
	.set _ZN9rocsparseL49gtsv_nopivot_strided_batch_pcr_pow2_shared_kernelILj64E21rocsparse_complex_numIdEEEviiiPKT0_S5_S5_PS3_.has_dyn_sized_stack, 0
	.set _ZN9rocsparseL49gtsv_nopivot_strided_batch_pcr_pow2_shared_kernelILj64E21rocsparse_complex_numIdEEEviiiPKT0_S5_S5_PS3_.has_recursion, 0
	.set _ZN9rocsparseL49gtsv_nopivot_strided_batch_pcr_pow2_shared_kernelILj64E21rocsparse_complex_numIdEEEviiiPKT0_S5_S5_PS3_.has_indirect_call, 0
	.section	.AMDGPU.csdata,"",@progbits
; Kernel info:
; codeLenInByte = 4056
; TotalNumSgprs: 18
; NumVgprs: 60
; NumAgprs: 0
; TotalNumVgprs: 60
; ScratchSize: 0
; MemoryBound: 0
; FloatMode: 240
; IeeeMode: 1
; LDSByteSize: 5200 bytes/workgroup (compile time only)
; SGPRBlocks: 2
; VGPRBlocks: 7
; NumSGPRsForWavesPerEU: 18
; NumVGPRsForWavesPerEU: 60
; AccumOffset: 60
; Occupancy: 8
; WaveLimiterHint : 0
; COMPUTE_PGM_RSRC2:SCRATCH_EN: 0
; COMPUTE_PGM_RSRC2:USER_SGPR: 2
; COMPUTE_PGM_RSRC2:TRAP_HANDLER: 0
; COMPUTE_PGM_RSRC2:TGID_X_EN: 1
; COMPUTE_PGM_RSRC2:TGID_Y_EN: 0
; COMPUTE_PGM_RSRC2:TGID_Z_EN: 0
; COMPUTE_PGM_RSRC2:TIDIG_COMP_CNT: 0
; COMPUTE_PGM_RSRC3_GFX90A:ACCUM_OFFSET: 14
; COMPUTE_PGM_RSRC3_GFX90A:TG_SPLIT: 0
	.section	.text._ZN9rocsparseL51gtsv_nopivot_strided_batch_crpcr_pow2_shared_kernelILj64ELj64E21rocsparse_complex_numIdEEEviiiPKT1_S5_S5_PS3_,"axG",@progbits,_ZN9rocsparseL51gtsv_nopivot_strided_batch_crpcr_pow2_shared_kernelILj64ELj64E21rocsparse_complex_numIdEEEviiiPKT1_S5_S5_PS3_,comdat
	.globl	_ZN9rocsparseL51gtsv_nopivot_strided_batch_crpcr_pow2_shared_kernelILj64ELj64E21rocsparse_complex_numIdEEEviiiPKT1_S5_S5_PS3_ ; -- Begin function _ZN9rocsparseL51gtsv_nopivot_strided_batch_crpcr_pow2_shared_kernelILj64ELj64E21rocsparse_complex_numIdEEEviiiPKT1_S5_S5_PS3_
	.p2align	8
	.type	_ZN9rocsparseL51gtsv_nopivot_strided_batch_crpcr_pow2_shared_kernelILj64ELj64E21rocsparse_complex_numIdEEEviiiPKT1_S5_S5_PS3_,@function
_ZN9rocsparseL51gtsv_nopivot_strided_batch_crpcr_pow2_shared_kernelILj64ELj64E21rocsparse_complex_numIdEEEviiiPKT1_S5_S5_PS3_: ; @_ZN9rocsparseL51gtsv_nopivot_strided_batch_crpcr_pow2_shared_kernelILj64ELj64E21rocsparse_complex_numIdEEEviiiPKT1_S5_S5_PS3_
; %bb.0:
	s_load_dword s3, s[0:1], 0x8
	s_load_dwordx8 s[4:11], s[0:1], 0x10
	v_mov_b32_e32 v5, 0
	v_lshlrev_b32_e32 v22, 4, v0
	v_or_b32_e32 v1, 0xc00, v22
	s_waitcnt lgkmcnt(0)
	s_mul_i32 s3, s3, s2
	v_add_u32_e32 v2, s3, v0
	v_ashrrev_i32_e32 v3, 31, v2
	v_add_u32_e32 v4, 64, v2
	v_lshlrev_b64 v[2:3], 4, v[2:3]
	v_lshlrev_b64 v[4:5], 4, v[4:5]
	v_lshl_add_u64 v[14:15], s[4:5], 0, v[2:3]
	v_lshl_add_u64 v[16:17], s[4:5], 0, v[4:5]
	v_lshl_add_u64 v[18:19], s[6:7], 0, v[2:3]
	global_load_dwordx4 v[6:9], v[14:15], off
	global_load_dwordx4 v[10:13], v[16:17], off
	v_lshl_add_u64 v[20:21], s[6:7], 0, v[4:5]
	global_load_dwordx4 v[14:17], v[18:19], off
	global_load_dwordx4 v[24:27], v[20:21], off
	v_lshl_add_u64 v[18:19], s[8:9], 0, v[2:3]
	v_lshl_add_u64 v[20:21], s[8:9], 0, v[4:5]
	global_load_dwordx4 v[28:31], v[18:19], off
	global_load_dwordx4 v[32:35], v[20:21], off
	v_lshl_add_u64 v[18:19], s[10:11], 0, v[2:3]
	v_lshl_add_u64 v[20:21], s[10:11], 0, v[4:5]
	global_load_dwordx4 v[36:39], v[18:19], off
	global_load_dwordx4 v[40:43], v[20:21], off
	v_cmp_gt_u32_e64 s[0:1], 64, v0
	v_or_b32_e32 v4, 0x800, v22
	v_or_b32_e32 v3, 0x1000, v22
	;; [unrolled: 1-line block ×5, first 2 shown]
	s_waitcnt vmcnt(7)
	ds_write2_b64 v22, v[6:7], v[8:9] offset1:1
	s_waitcnt vmcnt(6)
	ds_write2_b64 v22, v[10:11], v[12:13] offset0:128 offset1:129
	s_waitcnt vmcnt(5)
	ds_write2_b64 v4, v[14:15], v[16:17] offset1:1
	s_waitcnt vmcnt(4)
	ds_write2_b64 v1, v[24:25], v[26:27] offset1:1
	s_waitcnt vmcnt(3)
	ds_write2_b64 v3, v[28:29], v[30:31] offset1:1
	s_waitcnt vmcnt(2)
	ds_write2_b64 v5, v[32:33], v[34:35] offset1:1
	s_waitcnt vmcnt(1)
	ds_write2_b64 v2, v[36:37], v[38:39] offset1:1
	s_waitcnt vmcnt(0)
	ds_write2_b64 v23, v[40:41], v[42:43] offset1:1
	v_lshlrev_b32_e32 v1, 1, v0
	s_waitcnt lgkmcnt(0)
	; wave barrier
	s_and_saveexec_b64 s[2:3], s[0:1]
	s_cbranch_execz .LBB69_2
; %bb.1:
	v_add_u32_e32 v23, v4, v22
	ds_read_b128 v[4:7], v23
	ds_read_b128 v[8:11], v23 offset:16
	v_add_u32_e32 v48, v22, v22
	ds_read_b128 v[12:15], v48
	ds_read_b128 v[24:27], v48 offset:16
	v_min_u32_e32 v38, 0x7d, v1
	s_waitcnt lgkmcnt(3)
	v_mul_f64 v[16:17], v[6:7], v[6:7]
	v_fmac_f64_e32 v[16:17], v[4:5], v[4:5]
	v_div_scale_f64 v[28:29], s[4:5], v[16:17], v[16:17], 1.0
	v_rcp_f64_e32 v[30:31], v[28:29]
	v_lshlrev_b32_e32 v49, 4, v38
	v_add_u32_e32 v50, v3, v22
	v_fma_f64 v[32:33], -v[28:29], v[30:31], 1.0
	v_fmac_f64_e32 v[30:31], v[30:31], v[32:33]
	v_fma_f64 v[32:33], -v[28:29], v[30:31], 1.0
	v_fmac_f64_e32 v[30:31], v[30:31], v[32:33]
	v_div_scale_f64 v[32:33], vcc, 1.0, v[16:17], 1.0
	v_mul_f64 v[34:35], v[32:33], v[30:31]
	v_fma_f64 v[28:29], -v[28:29], v[34:35], v[32:33]
	s_nop 1
	v_div_fmas_f64 v[28:29], v[28:29], v[30:31], v[34:35]
	v_div_fixup_f64 v[16:17], v[28:29], v[16:17], 1.0
	s_waitcnt lgkmcnt(0)
	v_mul_f64 v[28:29], v[6:7], v[26:27]
	v_fmac_f64_e32 v[28:29], v[24:25], v[4:5]
	v_mul_f64 v[36:37], v[16:17], v[28:29]
	ds_read_b128 v[28:31], v49 offset:2080
	v_mul_f64 v[6:7], v[6:7], -v[24:25]
	v_fmac_f64_e32 v[6:7], v[26:27], v[4:5]
	v_mul_f64 v[16:17], v[16:17], v[6:7]
	ds_read_b128 v[4:7], v49 offset:32
	s_waitcnt lgkmcnt(1)
	v_mul_f64 v[38:39], v[30:31], v[30:31]
	v_fmac_f64_e32 v[38:39], v[28:29], v[28:29]
	v_div_scale_f64 v[40:41], s[4:5], v[38:39], v[38:39], 1.0
	v_rcp_f64_e32 v[42:43], v[40:41]
	ds_read_b128 v[24:27], v50
	ds_read_b128 v[32:35], v50 offset:16
	v_fma_f64 v[44:45], -v[40:41], v[42:43], 1.0
	v_fmac_f64_e32 v[42:43], v[42:43], v[44:45]
	v_fma_f64 v[44:45], -v[40:41], v[42:43], 1.0
	v_fmac_f64_e32 v[42:43], v[42:43], v[44:45]
	v_div_scale_f64 v[44:45], vcc, 1.0, v[38:39], 1.0
	v_mul_f64 v[46:47], v[44:45], v[42:43]
	v_fma_f64 v[40:41], -v[40:41], v[46:47], v[44:45]
	s_nop 1
	v_div_fmas_f64 v[40:41], v[40:41], v[42:43], v[46:47]
	v_div_fixup_f64 v[38:39], v[40:41], v[38:39], 1.0
	s_waitcnt lgkmcnt(0)
	v_mul_f64 v[40:41], v[30:31], v[34:35]
	v_mul_f64 v[30:31], v[30:31], -v[32:33]
	v_fmac_f64_e32 v[30:31], v[34:35], v[28:29]
	v_fmac_f64_e32 v[40:41], v[32:33], v[28:29]
	v_mul_f64 v[28:29], v[38:39], v[30:31]
	v_mul_f64 v[30:31], v[16:17], -v[26:27]
	v_fmac_f64_e32 v[30:31], v[24:25], v[36:37]
	v_mul_f64 v[24:25], v[16:17], v[24:25]
	v_fmac_f64_e32 v[24:25], v[26:27], v[36:37]
	v_mul_f64 v[40:41], v[38:39], v[40:41]
	v_add_f64 v[8:9], v[8:9], -v[30:31]
	v_add_f64 v[10:11], v[10:11], -v[24:25]
	v_mul_f64 v[24:25], v[28:29], -v[6:7]
	v_add_u32_e32 v30, v2, v22
	v_fmac_f64_e32 v[24:25], v[4:5], v[40:41]
	v_mul_f64 v[26:27], v[28:29], v[4:5]
	ds_read_b128 v[2:5], v30
	v_fmac_f64_e32 v[26:27], v[6:7], v[40:41]
	v_add_f64 v[6:7], v[8:9], -v[24:25]
	v_add_f64 v[8:9], v[10:11], -v[26:27]
	ds_write_b128 v23, v[6:9] offset:16
	ds_read_b128 v[6:9], v30 offset:16
	ds_read_b128 v[24:27], v49 offset:8224
	s_waitcnt lgkmcnt(3)
	v_mul_f64 v[10:11], v[16:17], -v[4:5]
	v_fmac_f64_e32 v[10:11], v[2:3], v[36:37]
	v_mul_f64 v[2:3], v[16:17], v[2:3]
	v_fmac_f64_e32 v[2:3], v[4:5], v[36:37]
	s_waitcnt lgkmcnt(1)
	v_add_f64 v[6:7], v[6:7], -v[10:11]
	v_add_f64 v[8:9], v[8:9], -v[2:3]
	ds_read_b128 v[2:5], v49 offset:4128
	s_waitcnt lgkmcnt(1)
	v_mul_f64 v[10:11], v[28:29], -v[26:27]
	v_fmac_f64_e32 v[10:11], v[24:25], v[40:41]
	v_mul_f64 v[24:25], v[28:29], v[24:25]
	v_fmac_f64_e32 v[24:25], v[26:27], v[40:41]
	v_add_f64 v[6:7], v[6:7], -v[10:11]
	v_add_f64 v[8:9], v[8:9], -v[24:25]
	ds_write_b128 v30, v[6:9] offset:16
	v_mul_f64 v[6:7], v[16:17], v[14:15]
	v_mul_f64 v[8:9], v[16:17], -v[12:13]
	v_fma_f64 v[6:7], -v[12:13], v[36:37], v[6:7]
	v_fma_f64 v[8:9], -v[14:15], v[36:37], v[8:9]
	ds_write_b128 v48, v[6:9] offset:16
	s_waitcnt lgkmcnt(2)
	v_mul_f64 v[6:7], v[28:29], v[4:5]
	v_fma_f64 v[6:7], -v[2:3], v[40:41], v[6:7]
	v_mul_f64 v[2:3], v[28:29], -v[2:3]
	v_fma_f64 v[8:9], -v[4:5], v[40:41], v[2:3]
	ds_write_b128 v50, v[6:9] offset:16
.LBB69_2:
	s_or_b64 exec, exec, s[2:3]
	v_lshlrev_b32_e32 v23, 5, v0
	s_waitcnt lgkmcnt(0)
	; wave barrier
	s_and_saveexec_b64 s[2:3], s[0:1]
	s_cbranch_execz .LBB69_4
; %bb.3:
	ds_read_b128 v[2:5], v23 offset:16
	ds_read_b128 v[6:9], v23 offset:2064
	;; [unrolled: 1-line block ×4, first 2 shown]
	s_waitcnt lgkmcnt(3)
	ds_write_b128 v22, v[2:5] offset:10240
	s_waitcnt lgkmcnt(3)
	ds_write_b128 v22, v[6:9] offset:11264
	;; [unrolled: 2-line block ×4, first 2 shown]
.LBB69_4:
	s_or_b64 exec, exec, s[2:3]
	v_or_b32_e32 v26, 0x2800, v22
	v_or_b32_e32 v25, 0x3000, v22
	;; [unrolled: 1-line block ×4, first 2 shown]
	s_waitcnt lgkmcnt(0)
	; wave barrier
                                        ; implicit-def: $vgpr6_vgpr7
                                        ; implicit-def: $vgpr14_vgpr15
                                        ; implicit-def: $vgpr2_vgpr3
                                        ; implicit-def: $vgpr10_vgpr11
	s_and_saveexec_b64 s[2:3], s[0:1]
	s_cbranch_execz .LBB69_6
; %bb.5:
	v_sub_u32_e64 v2, v0, 1 clamp
	v_lshlrev_b32_e32 v48, 4, v2
	ds_read_b128 v[2:5], v48 offset:11264
	v_min_u32_e32 v34, 62, v0
	v_lshlrev_b32_e32 v49, 4, v34
	ds_read_b128 v[12:15], v48 offset:10240
	ds_read_b128 v[6:9], v26
	s_waitcnt lgkmcnt(2)
	v_mul_f64 v[10:11], v[4:5], v[4:5]
	v_fmac_f64_e32 v[10:11], v[2:3], v[2:3]
	v_div_scale_f64 v[16:17], s[4:5], v[10:11], v[10:11], 1.0
	v_rcp_f64_e32 v[28:29], v[16:17]
	v_div_scale_f64 v[30:31], vcc, 1.0, v[10:11], 1.0
	v_fma_f64 v[32:33], -v[16:17], v[28:29], 1.0
	v_fmac_f64_e32 v[28:29], v[28:29], v[32:33]
	v_fma_f64 v[32:33], -v[16:17], v[28:29], 1.0
	v_fmac_f64_e32 v[28:29], v[28:29], v[32:33]
	v_mul_f64 v[32:33], v[30:31], v[28:29]
	v_fma_f64 v[16:17], -v[16:17], v[32:33], v[30:31]
	v_div_fmas_f64 v[16:17], v[16:17], v[28:29], v[32:33]
	ds_read_b128 v[28:31], v49 offset:11280
	ds_read_b128 v[32:35], v25
	v_div_fixup_f64 v[10:11], v[16:17], v[10:11], 1.0
	s_waitcnt lgkmcnt(2)
	v_mul_f64 v[16:17], v[4:5], v[8:9]
	v_mul_f64 v[4:5], v[4:5], -v[6:7]
	s_waitcnt lgkmcnt(1)
	v_mul_f64 v[40:41], v[30:31], v[30:31]
	v_fmac_f64_e32 v[40:41], v[28:29], v[28:29]
	v_div_scale_f64 v[42:43], s[4:5], v[40:41], v[40:41], 1.0
	v_rcp_f64_e32 v[44:45], v[42:43]
	v_fmac_f64_e32 v[16:17], v[6:7], v[2:3]
	v_fmac_f64_e32 v[4:5], v[8:9], v[2:3]
	v_mul_f64 v[46:47], v[10:11], v[4:5]
	v_fma_f64 v[2:3], -v[42:43], v[44:45], 1.0
	v_fmac_f64_e32 v[44:45], v[44:45], v[2:3]
	v_fma_f64 v[2:3], -v[42:43], v[44:45], 1.0
	v_fmac_f64_e32 v[44:45], v[44:45], v[2:3]
	v_div_scale_f64 v[2:3], vcc, 1.0, v[40:41], 1.0
	v_mul_f64 v[4:5], v[2:3], v[44:45]
	v_fma_f64 v[2:3], -v[42:43], v[4:5], v[2:3]
	s_waitcnt lgkmcnt(0)
	v_mul_f64 v[8:9], v[30:31], -v[32:33]
	v_div_fmas_f64 v[2:3], v[2:3], v[44:45], v[4:5]
	v_div_fixup_f64 v[6:7], v[2:3], v[40:41], 1.0
	v_mul_f64 v[2:3], v[30:31], v[34:35]
	v_fmac_f64_e32 v[2:3], v[32:33], v[28:29]
	v_mul_f64 v[40:41], v[6:7], v[2:3]
	ds_read_b128 v[2:5], v48 offset:12288
	ds_read_b128 v[36:39], v49 offset:10256
	v_fmac_f64_e32 v[8:9], v[34:35], v[28:29]
	ds_read_b128 v[28:31], v27
	ds_read_b128 v[32:35], v24
	v_mul_f64 v[16:17], v[10:11], v[16:17]
	v_mul_f64 v[42:43], v[6:7], v[8:9]
	ds_read_b128 v[6:9], v48 offset:14336
	s_waitcnt lgkmcnt(4)
	v_mul_f64 v[10:11], v[46:47], -v[4:5]
	v_fmac_f64_e32 v[10:11], v[2:3], v[16:17]
	v_mul_f64 v[2:3], v[46:47], v[2:3]
	v_fmac_f64_e32 v[2:3], v[4:5], v[16:17]
	s_waitcnt lgkmcnt(2)
	v_add_f64 v[4:5], v[28:29], -v[10:11]
	v_add_f64 v[10:11], v[30:31], -v[2:3]
	v_mul_f64 v[2:3], v[42:43], -v[38:39]
	v_mul_f64 v[28:29], v[42:43], v[36:37]
	v_fmac_f64_e32 v[2:3], v[36:37], v[40:41]
	v_fmac_f64_e32 v[28:29], v[38:39], v[40:41]
	v_add_f64 v[2:3], v[4:5], -v[2:3]
	v_add_f64 v[4:5], v[10:11], -v[28:29]
	ds_read_b128 v[28:31], v49 offset:14352
	s_waitcnt lgkmcnt(1)
	v_mul_f64 v[10:11], v[46:47], -v[8:9]
	v_fmac_f64_e32 v[10:11], v[6:7], v[16:17]
	v_mul_f64 v[6:7], v[46:47], v[6:7]
	v_fmac_f64_e32 v[6:7], v[8:9], v[16:17]
	v_add_f64 v[8:9], v[32:33], -v[10:11]
	v_add_f64 v[10:11], v[34:35], -v[6:7]
	ds_read_b128 v[32:35], v49 offset:12304
	s_waitcnt lgkmcnt(1)
	v_mul_f64 v[6:7], v[42:43], -v[30:31]
	v_fmac_f64_e32 v[6:7], v[28:29], v[40:41]
	v_mul_f64 v[28:29], v[42:43], v[28:29]
	v_fmac_f64_e32 v[28:29], v[30:31], v[40:41]
	v_add_f64 v[6:7], v[8:9], -v[6:7]
	v_add_f64 v[8:9], v[10:11], -v[28:29]
	v_mul_f64 v[10:11], v[46:47], v[14:15]
	v_fma_f64 v[10:11], -v[12:13], v[16:17], v[10:11]
	v_mul_f64 v[12:13], v[46:47], -v[12:13]
	v_fma_f64 v[12:13], -v[14:15], v[16:17], v[12:13]
	s_waitcnt lgkmcnt(0)
	v_mul_f64 v[14:15], v[42:43], v[34:35]
	v_mul_f64 v[16:17], v[42:43], -v[32:33]
	v_fma_f64 v[14:15], -v[32:33], v[40:41], v[14:15]
	v_fma_f64 v[16:17], -v[34:35], v[40:41], v[16:17]
.LBB69_6:
	s_or_b64 exec, exec, s[2:3]
	; wave barrier
	s_and_saveexec_b64 s[2:3], s[0:1]
	s_cbranch_execz .LBB69_8
; %bb.7:
	ds_write_b128 v27, v[2:5]
	ds_write_b128 v24, v[6:9]
	;; [unrolled: 1-line block ×4, first 2 shown]
.LBB69_8:
	s_or_b64 exec, exec, s[2:3]
	s_waitcnt lgkmcnt(0)
	; wave barrier
	s_and_saveexec_b64 s[2:3], s[0:1]
	s_cbranch_execz .LBB69_10
; %bb.9:
	v_sub_u32_e64 v2, v0, 2 clamp
	v_lshlrev_b32_e32 v48, 4, v2
	ds_read_b128 v[2:5], v48 offset:11264
	v_min_u32_e32 v34, 61, v0
	v_lshlrev_b32_e32 v49, 4, v34
	ds_read_b128 v[12:15], v48 offset:10240
	ds_read_b128 v[6:9], v26
	s_waitcnt lgkmcnt(2)
	v_mul_f64 v[10:11], v[4:5], v[4:5]
	v_fmac_f64_e32 v[10:11], v[2:3], v[2:3]
	v_div_scale_f64 v[16:17], s[4:5], v[10:11], v[10:11], 1.0
	v_rcp_f64_e32 v[28:29], v[16:17]
	v_div_scale_f64 v[30:31], vcc, 1.0, v[10:11], 1.0
	v_fma_f64 v[32:33], -v[16:17], v[28:29], 1.0
	v_fmac_f64_e32 v[28:29], v[28:29], v[32:33]
	v_fma_f64 v[32:33], -v[16:17], v[28:29], 1.0
	v_fmac_f64_e32 v[28:29], v[28:29], v[32:33]
	v_mul_f64 v[32:33], v[30:31], v[28:29]
	v_fma_f64 v[16:17], -v[16:17], v[32:33], v[30:31]
	v_div_fmas_f64 v[16:17], v[16:17], v[28:29], v[32:33]
	ds_read_b128 v[28:31], v49 offset:11296
	ds_read_b128 v[32:35], v25
	v_div_fixup_f64 v[10:11], v[16:17], v[10:11], 1.0
	s_waitcnt lgkmcnt(2)
	v_mul_f64 v[16:17], v[4:5], v[8:9]
	v_mul_f64 v[4:5], v[4:5], -v[6:7]
	s_waitcnt lgkmcnt(1)
	v_mul_f64 v[40:41], v[30:31], v[30:31]
	v_fmac_f64_e32 v[40:41], v[28:29], v[28:29]
	v_div_scale_f64 v[42:43], s[4:5], v[40:41], v[40:41], 1.0
	v_rcp_f64_e32 v[44:45], v[42:43]
	v_fmac_f64_e32 v[16:17], v[6:7], v[2:3]
	v_fmac_f64_e32 v[4:5], v[8:9], v[2:3]
	v_mul_f64 v[46:47], v[10:11], v[4:5]
	v_fma_f64 v[2:3], -v[42:43], v[44:45], 1.0
	v_fmac_f64_e32 v[44:45], v[44:45], v[2:3]
	v_fma_f64 v[2:3], -v[42:43], v[44:45], 1.0
	v_fmac_f64_e32 v[44:45], v[44:45], v[2:3]
	v_div_scale_f64 v[2:3], vcc, 1.0, v[40:41], 1.0
	v_mul_f64 v[4:5], v[2:3], v[44:45]
	v_fma_f64 v[2:3], -v[42:43], v[4:5], v[2:3]
	s_waitcnt lgkmcnt(0)
	v_mul_f64 v[8:9], v[30:31], -v[32:33]
	v_div_fmas_f64 v[2:3], v[2:3], v[44:45], v[4:5]
	v_div_fixup_f64 v[6:7], v[2:3], v[40:41], 1.0
	v_mul_f64 v[2:3], v[30:31], v[34:35]
	v_fmac_f64_e32 v[2:3], v[32:33], v[28:29]
	v_mul_f64 v[40:41], v[6:7], v[2:3]
	ds_read_b128 v[2:5], v48 offset:12288
	ds_read_b128 v[36:39], v49 offset:10272
	v_fmac_f64_e32 v[8:9], v[34:35], v[28:29]
	ds_read_b128 v[28:31], v27
	ds_read_b128 v[32:35], v24
	v_mul_f64 v[16:17], v[10:11], v[16:17]
	v_mul_f64 v[42:43], v[6:7], v[8:9]
	ds_read_b128 v[6:9], v48 offset:14336
	s_waitcnt lgkmcnt(4)
	v_mul_f64 v[10:11], v[46:47], -v[4:5]
	v_fmac_f64_e32 v[10:11], v[2:3], v[16:17]
	v_mul_f64 v[2:3], v[46:47], v[2:3]
	v_fmac_f64_e32 v[2:3], v[4:5], v[16:17]
	s_waitcnt lgkmcnt(2)
	v_add_f64 v[4:5], v[28:29], -v[10:11]
	v_add_f64 v[10:11], v[30:31], -v[2:3]
	v_mul_f64 v[2:3], v[42:43], -v[38:39]
	v_mul_f64 v[28:29], v[42:43], v[36:37]
	v_fmac_f64_e32 v[2:3], v[36:37], v[40:41]
	v_fmac_f64_e32 v[28:29], v[38:39], v[40:41]
	v_add_f64 v[2:3], v[4:5], -v[2:3]
	v_add_f64 v[4:5], v[10:11], -v[28:29]
	ds_read_b128 v[28:31], v49 offset:14368
	s_waitcnt lgkmcnt(1)
	v_mul_f64 v[10:11], v[46:47], -v[8:9]
	v_fmac_f64_e32 v[10:11], v[6:7], v[16:17]
	v_mul_f64 v[6:7], v[46:47], v[6:7]
	v_fmac_f64_e32 v[6:7], v[8:9], v[16:17]
	v_add_f64 v[8:9], v[32:33], -v[10:11]
	v_add_f64 v[10:11], v[34:35], -v[6:7]
	ds_read_b128 v[32:35], v49 offset:12320
	s_waitcnt lgkmcnt(1)
	v_mul_f64 v[6:7], v[42:43], -v[30:31]
	v_fmac_f64_e32 v[6:7], v[28:29], v[40:41]
	v_mul_f64 v[28:29], v[42:43], v[28:29]
	v_fmac_f64_e32 v[28:29], v[30:31], v[40:41]
	v_add_f64 v[6:7], v[8:9], -v[6:7]
	v_add_f64 v[8:9], v[10:11], -v[28:29]
	v_mul_f64 v[10:11], v[46:47], v[14:15]
	v_fma_f64 v[10:11], -v[12:13], v[16:17], v[10:11]
	v_mul_f64 v[12:13], v[46:47], -v[12:13]
	v_fma_f64 v[12:13], -v[14:15], v[16:17], v[12:13]
	s_waitcnt lgkmcnt(0)
	v_mul_f64 v[14:15], v[42:43], v[34:35]
	v_mul_f64 v[16:17], v[42:43], -v[32:33]
	v_fma_f64 v[14:15], -v[32:33], v[40:41], v[14:15]
	v_fma_f64 v[16:17], -v[34:35], v[40:41], v[16:17]
.LBB69_10:
	s_or_b64 exec, exec, s[2:3]
	; wave barrier
	s_and_saveexec_b64 s[2:3], s[0:1]
	s_cbranch_execz .LBB69_12
; %bb.11:
	ds_write_b128 v27, v[2:5]
	ds_write_b128 v24, v[6:9]
	;; [unrolled: 1-line block ×4, first 2 shown]
.LBB69_12:
	s_or_b64 exec, exec, s[2:3]
	s_waitcnt lgkmcnt(0)
	; wave barrier
	s_and_saveexec_b64 s[2:3], s[0:1]
	s_cbranch_execz .LBB69_14
; %bb.13:
	v_sub_u32_e64 v2, v0, 4 clamp
	v_lshlrev_b32_e32 v48, 4, v2
	ds_read_b128 v[2:5], v48 offset:11264
	v_min_u32_e32 v34, 59, v0
	v_lshlrev_b32_e32 v49, 4, v34
	ds_read_b128 v[12:15], v48 offset:10240
	ds_read_b128 v[6:9], v26
	s_waitcnt lgkmcnt(2)
	v_mul_f64 v[10:11], v[4:5], v[4:5]
	v_fmac_f64_e32 v[10:11], v[2:3], v[2:3]
	v_div_scale_f64 v[16:17], s[4:5], v[10:11], v[10:11], 1.0
	v_rcp_f64_e32 v[28:29], v[16:17]
	v_div_scale_f64 v[30:31], vcc, 1.0, v[10:11], 1.0
	v_fma_f64 v[32:33], -v[16:17], v[28:29], 1.0
	v_fmac_f64_e32 v[28:29], v[28:29], v[32:33]
	v_fma_f64 v[32:33], -v[16:17], v[28:29], 1.0
	v_fmac_f64_e32 v[28:29], v[28:29], v[32:33]
	v_mul_f64 v[32:33], v[30:31], v[28:29]
	v_fma_f64 v[16:17], -v[16:17], v[32:33], v[30:31]
	v_div_fmas_f64 v[16:17], v[16:17], v[28:29], v[32:33]
	ds_read_b128 v[28:31], v49 offset:11328
	ds_read_b128 v[32:35], v25
	v_div_fixup_f64 v[10:11], v[16:17], v[10:11], 1.0
	s_waitcnt lgkmcnt(2)
	v_mul_f64 v[16:17], v[4:5], v[8:9]
	v_mul_f64 v[4:5], v[4:5], -v[6:7]
	s_waitcnt lgkmcnt(1)
	v_mul_f64 v[40:41], v[30:31], v[30:31]
	v_fmac_f64_e32 v[40:41], v[28:29], v[28:29]
	v_div_scale_f64 v[42:43], s[4:5], v[40:41], v[40:41], 1.0
	v_rcp_f64_e32 v[44:45], v[42:43]
	v_fmac_f64_e32 v[16:17], v[6:7], v[2:3]
	v_fmac_f64_e32 v[4:5], v[8:9], v[2:3]
	v_mul_f64 v[46:47], v[10:11], v[4:5]
	v_fma_f64 v[2:3], -v[42:43], v[44:45], 1.0
	v_fmac_f64_e32 v[44:45], v[44:45], v[2:3]
	v_fma_f64 v[2:3], -v[42:43], v[44:45], 1.0
	v_fmac_f64_e32 v[44:45], v[44:45], v[2:3]
	v_div_scale_f64 v[2:3], vcc, 1.0, v[40:41], 1.0
	v_mul_f64 v[4:5], v[2:3], v[44:45]
	v_fma_f64 v[2:3], -v[42:43], v[4:5], v[2:3]
	s_waitcnt lgkmcnt(0)
	v_mul_f64 v[8:9], v[30:31], -v[32:33]
	v_div_fmas_f64 v[2:3], v[2:3], v[44:45], v[4:5]
	v_div_fixup_f64 v[6:7], v[2:3], v[40:41], 1.0
	v_mul_f64 v[2:3], v[30:31], v[34:35]
	v_fmac_f64_e32 v[2:3], v[32:33], v[28:29]
	v_mul_f64 v[40:41], v[6:7], v[2:3]
	ds_read_b128 v[2:5], v48 offset:12288
	ds_read_b128 v[36:39], v49 offset:10304
	v_fmac_f64_e32 v[8:9], v[34:35], v[28:29]
	ds_read_b128 v[28:31], v27
	ds_read_b128 v[32:35], v24
	v_mul_f64 v[16:17], v[10:11], v[16:17]
	v_mul_f64 v[42:43], v[6:7], v[8:9]
	ds_read_b128 v[6:9], v48 offset:14336
	s_waitcnt lgkmcnt(4)
	v_mul_f64 v[10:11], v[46:47], -v[4:5]
	v_fmac_f64_e32 v[10:11], v[2:3], v[16:17]
	v_mul_f64 v[2:3], v[46:47], v[2:3]
	v_fmac_f64_e32 v[2:3], v[4:5], v[16:17]
	s_waitcnt lgkmcnt(2)
	v_add_f64 v[4:5], v[28:29], -v[10:11]
	v_add_f64 v[10:11], v[30:31], -v[2:3]
	v_mul_f64 v[2:3], v[42:43], -v[38:39]
	v_mul_f64 v[28:29], v[42:43], v[36:37]
	v_fmac_f64_e32 v[2:3], v[36:37], v[40:41]
	v_fmac_f64_e32 v[28:29], v[38:39], v[40:41]
	v_add_f64 v[2:3], v[4:5], -v[2:3]
	v_add_f64 v[4:5], v[10:11], -v[28:29]
	ds_read_b128 v[28:31], v49 offset:14400
	s_waitcnt lgkmcnt(1)
	v_mul_f64 v[10:11], v[46:47], -v[8:9]
	v_fmac_f64_e32 v[10:11], v[6:7], v[16:17]
	v_mul_f64 v[6:7], v[46:47], v[6:7]
	v_fmac_f64_e32 v[6:7], v[8:9], v[16:17]
	v_add_f64 v[8:9], v[32:33], -v[10:11]
	v_add_f64 v[10:11], v[34:35], -v[6:7]
	ds_read_b128 v[32:35], v49 offset:12352
	s_waitcnt lgkmcnt(1)
	v_mul_f64 v[6:7], v[42:43], -v[30:31]
	v_fmac_f64_e32 v[6:7], v[28:29], v[40:41]
	v_mul_f64 v[28:29], v[42:43], v[28:29]
	v_fmac_f64_e32 v[28:29], v[30:31], v[40:41]
	v_add_f64 v[6:7], v[8:9], -v[6:7]
	v_add_f64 v[8:9], v[10:11], -v[28:29]
	v_mul_f64 v[10:11], v[46:47], v[14:15]
	v_fma_f64 v[10:11], -v[12:13], v[16:17], v[10:11]
	v_mul_f64 v[12:13], v[46:47], -v[12:13]
	v_fma_f64 v[12:13], -v[14:15], v[16:17], v[12:13]
	s_waitcnt lgkmcnt(0)
	v_mul_f64 v[14:15], v[42:43], v[34:35]
	v_mul_f64 v[16:17], v[42:43], -v[32:33]
	v_fma_f64 v[14:15], -v[32:33], v[40:41], v[14:15]
	v_fma_f64 v[16:17], -v[34:35], v[40:41], v[16:17]
.LBB69_14:
	s_or_b64 exec, exec, s[2:3]
	; wave barrier
	s_and_saveexec_b64 s[2:3], s[0:1]
	s_cbranch_execz .LBB69_16
; %bb.15:
	ds_write_b128 v27, v[2:5]
	ds_write_b128 v24, v[6:9]
	;; [unrolled: 1-line block ×4, first 2 shown]
.LBB69_16:
	s_or_b64 exec, exec, s[2:3]
	s_waitcnt lgkmcnt(0)
	; wave barrier
	s_and_saveexec_b64 s[2:3], s[0:1]
	s_cbranch_execz .LBB69_18
; %bb.17:
	v_sub_u32_e64 v2, v0, 8 clamp
	v_lshlrev_b32_e32 v48, 4, v2
	ds_read_b128 v[2:5], v48 offset:11264
	v_min_u32_e32 v34, 55, v0
	v_lshlrev_b32_e32 v49, 4, v34
	ds_read_b128 v[12:15], v48 offset:10240
	ds_read_b128 v[6:9], v26
	s_waitcnt lgkmcnt(2)
	v_mul_f64 v[10:11], v[4:5], v[4:5]
	v_fmac_f64_e32 v[10:11], v[2:3], v[2:3]
	v_div_scale_f64 v[16:17], s[4:5], v[10:11], v[10:11], 1.0
	v_rcp_f64_e32 v[28:29], v[16:17]
	v_div_scale_f64 v[30:31], vcc, 1.0, v[10:11], 1.0
	v_fma_f64 v[32:33], -v[16:17], v[28:29], 1.0
	v_fmac_f64_e32 v[28:29], v[28:29], v[32:33]
	v_fma_f64 v[32:33], -v[16:17], v[28:29], 1.0
	v_fmac_f64_e32 v[28:29], v[28:29], v[32:33]
	v_mul_f64 v[32:33], v[30:31], v[28:29]
	v_fma_f64 v[16:17], -v[16:17], v[32:33], v[30:31]
	v_div_fmas_f64 v[16:17], v[16:17], v[28:29], v[32:33]
	ds_read_b128 v[28:31], v49 offset:11392
	ds_read_b128 v[32:35], v25
	v_div_fixup_f64 v[10:11], v[16:17], v[10:11], 1.0
	s_waitcnt lgkmcnt(2)
	v_mul_f64 v[16:17], v[4:5], v[8:9]
	v_mul_f64 v[4:5], v[4:5], -v[6:7]
	s_waitcnt lgkmcnt(1)
	v_mul_f64 v[40:41], v[30:31], v[30:31]
	v_fmac_f64_e32 v[40:41], v[28:29], v[28:29]
	v_div_scale_f64 v[42:43], s[4:5], v[40:41], v[40:41], 1.0
	v_rcp_f64_e32 v[44:45], v[42:43]
	v_fmac_f64_e32 v[16:17], v[6:7], v[2:3]
	v_fmac_f64_e32 v[4:5], v[8:9], v[2:3]
	v_mul_f64 v[46:47], v[10:11], v[4:5]
	v_fma_f64 v[2:3], -v[42:43], v[44:45], 1.0
	v_fmac_f64_e32 v[44:45], v[44:45], v[2:3]
	v_fma_f64 v[2:3], -v[42:43], v[44:45], 1.0
	v_fmac_f64_e32 v[44:45], v[44:45], v[2:3]
	v_div_scale_f64 v[2:3], vcc, 1.0, v[40:41], 1.0
	v_mul_f64 v[4:5], v[2:3], v[44:45]
	v_fma_f64 v[2:3], -v[42:43], v[4:5], v[2:3]
	s_waitcnt lgkmcnt(0)
	v_mul_f64 v[8:9], v[30:31], -v[32:33]
	v_div_fmas_f64 v[2:3], v[2:3], v[44:45], v[4:5]
	v_div_fixup_f64 v[6:7], v[2:3], v[40:41], 1.0
	v_mul_f64 v[2:3], v[30:31], v[34:35]
	v_fmac_f64_e32 v[2:3], v[32:33], v[28:29]
	v_mul_f64 v[40:41], v[6:7], v[2:3]
	ds_read_b128 v[2:5], v48 offset:12288
	ds_read_b128 v[36:39], v49 offset:10368
	v_fmac_f64_e32 v[8:9], v[34:35], v[28:29]
	ds_read_b128 v[28:31], v27
	ds_read_b128 v[32:35], v24
	v_mul_f64 v[16:17], v[10:11], v[16:17]
	v_mul_f64 v[42:43], v[6:7], v[8:9]
	ds_read_b128 v[6:9], v48 offset:14336
	s_waitcnt lgkmcnt(4)
	v_mul_f64 v[10:11], v[46:47], -v[4:5]
	v_fmac_f64_e32 v[10:11], v[2:3], v[16:17]
	v_mul_f64 v[2:3], v[46:47], v[2:3]
	v_fmac_f64_e32 v[2:3], v[4:5], v[16:17]
	s_waitcnt lgkmcnt(2)
	v_add_f64 v[4:5], v[28:29], -v[10:11]
	v_add_f64 v[10:11], v[30:31], -v[2:3]
	v_mul_f64 v[2:3], v[42:43], -v[38:39]
	v_mul_f64 v[28:29], v[42:43], v[36:37]
	v_fmac_f64_e32 v[2:3], v[36:37], v[40:41]
	v_fmac_f64_e32 v[28:29], v[38:39], v[40:41]
	v_add_f64 v[2:3], v[4:5], -v[2:3]
	v_add_f64 v[4:5], v[10:11], -v[28:29]
	ds_read_b128 v[28:31], v49 offset:14464
	s_waitcnt lgkmcnt(1)
	v_mul_f64 v[10:11], v[46:47], -v[8:9]
	v_fmac_f64_e32 v[10:11], v[6:7], v[16:17]
	v_mul_f64 v[6:7], v[46:47], v[6:7]
	v_fmac_f64_e32 v[6:7], v[8:9], v[16:17]
	v_add_f64 v[8:9], v[32:33], -v[10:11]
	v_add_f64 v[10:11], v[34:35], -v[6:7]
	ds_read_b128 v[32:35], v49 offset:12416
	s_waitcnt lgkmcnt(1)
	v_mul_f64 v[6:7], v[42:43], -v[30:31]
	v_fmac_f64_e32 v[6:7], v[28:29], v[40:41]
	v_mul_f64 v[28:29], v[42:43], v[28:29]
	v_fmac_f64_e32 v[28:29], v[30:31], v[40:41]
	v_add_f64 v[6:7], v[8:9], -v[6:7]
	v_add_f64 v[8:9], v[10:11], -v[28:29]
	v_mul_f64 v[10:11], v[46:47], v[14:15]
	v_fma_f64 v[10:11], -v[12:13], v[16:17], v[10:11]
	v_mul_f64 v[12:13], v[46:47], -v[12:13]
	v_fma_f64 v[12:13], -v[14:15], v[16:17], v[12:13]
	s_waitcnt lgkmcnt(0)
	v_mul_f64 v[14:15], v[42:43], v[34:35]
	v_mul_f64 v[16:17], v[42:43], -v[32:33]
	v_fma_f64 v[14:15], -v[32:33], v[40:41], v[14:15]
	v_fma_f64 v[16:17], -v[34:35], v[40:41], v[16:17]
.LBB69_18:
	s_or_b64 exec, exec, s[2:3]
	; wave barrier
	s_and_saveexec_b64 s[2:3], s[0:1]
	s_cbranch_execz .LBB69_20
; %bb.19:
	ds_write_b128 v27, v[2:5]
	ds_write_b128 v24, v[6:9]
	;; [unrolled: 1-line block ×4, first 2 shown]
.LBB69_20:
	s_or_b64 exec, exec, s[2:3]
	s_waitcnt lgkmcnt(0)
	; wave barrier
	s_and_saveexec_b64 s[2:3], s[0:1]
	s_cbranch_execz .LBB69_22
; %bb.21:
	v_sub_u32_e64 v2, v0, 16 clamp
	v_lshlrev_b32_e32 v48, 4, v2
	ds_read_b128 v[2:5], v48 offset:11264
	v_min_u32_e32 v34, 47, v0
	v_lshlrev_b32_e32 v49, 4, v34
	ds_read_b128 v[12:15], v48 offset:10240
	ds_read_b128 v[6:9], v26
	s_waitcnt lgkmcnt(2)
	v_mul_f64 v[10:11], v[4:5], v[4:5]
	v_fmac_f64_e32 v[10:11], v[2:3], v[2:3]
	v_div_scale_f64 v[16:17], s[4:5], v[10:11], v[10:11], 1.0
	v_rcp_f64_e32 v[28:29], v[16:17]
	v_div_scale_f64 v[30:31], vcc, 1.0, v[10:11], 1.0
	v_fma_f64 v[32:33], -v[16:17], v[28:29], 1.0
	v_fmac_f64_e32 v[28:29], v[28:29], v[32:33]
	v_fma_f64 v[32:33], -v[16:17], v[28:29], 1.0
	v_fmac_f64_e32 v[28:29], v[28:29], v[32:33]
	v_mul_f64 v[32:33], v[30:31], v[28:29]
	v_fma_f64 v[16:17], -v[16:17], v[32:33], v[30:31]
	v_div_fmas_f64 v[16:17], v[16:17], v[28:29], v[32:33]
	ds_read_b128 v[28:31], v49 offset:11520
	ds_read_b128 v[32:35], v25
	v_div_fixup_f64 v[10:11], v[16:17], v[10:11], 1.0
	s_waitcnt lgkmcnt(2)
	v_mul_f64 v[16:17], v[4:5], v[8:9]
	v_mul_f64 v[4:5], v[4:5], -v[6:7]
	s_waitcnt lgkmcnt(1)
	v_mul_f64 v[40:41], v[30:31], v[30:31]
	v_fmac_f64_e32 v[40:41], v[28:29], v[28:29]
	v_div_scale_f64 v[42:43], s[4:5], v[40:41], v[40:41], 1.0
	v_rcp_f64_e32 v[44:45], v[42:43]
	v_fmac_f64_e32 v[16:17], v[6:7], v[2:3]
	v_fmac_f64_e32 v[4:5], v[8:9], v[2:3]
	v_mul_f64 v[46:47], v[10:11], v[4:5]
	v_fma_f64 v[2:3], -v[42:43], v[44:45], 1.0
	v_fmac_f64_e32 v[44:45], v[44:45], v[2:3]
	v_fma_f64 v[2:3], -v[42:43], v[44:45], 1.0
	v_fmac_f64_e32 v[44:45], v[44:45], v[2:3]
	v_div_scale_f64 v[2:3], vcc, 1.0, v[40:41], 1.0
	v_mul_f64 v[4:5], v[2:3], v[44:45]
	v_fma_f64 v[2:3], -v[42:43], v[4:5], v[2:3]
	s_waitcnt lgkmcnt(0)
	v_mul_f64 v[8:9], v[30:31], -v[32:33]
	v_div_fmas_f64 v[2:3], v[2:3], v[44:45], v[4:5]
	v_div_fixup_f64 v[6:7], v[2:3], v[40:41], 1.0
	v_mul_f64 v[2:3], v[30:31], v[34:35]
	v_fmac_f64_e32 v[2:3], v[32:33], v[28:29]
	v_mul_f64 v[40:41], v[6:7], v[2:3]
	ds_read_b128 v[2:5], v48 offset:12288
	ds_read_b128 v[36:39], v49 offset:10496
	v_fmac_f64_e32 v[8:9], v[34:35], v[28:29]
	ds_read_b128 v[28:31], v27
	ds_read_b128 v[32:35], v24
	v_mul_f64 v[16:17], v[10:11], v[16:17]
	v_mul_f64 v[42:43], v[6:7], v[8:9]
	ds_read_b128 v[6:9], v48 offset:14336
	s_waitcnt lgkmcnt(4)
	v_mul_f64 v[10:11], v[46:47], -v[4:5]
	v_fmac_f64_e32 v[10:11], v[2:3], v[16:17]
	v_mul_f64 v[2:3], v[46:47], v[2:3]
	v_fmac_f64_e32 v[2:3], v[4:5], v[16:17]
	s_waitcnt lgkmcnt(2)
	v_add_f64 v[4:5], v[28:29], -v[10:11]
	v_add_f64 v[10:11], v[30:31], -v[2:3]
	v_mul_f64 v[2:3], v[42:43], -v[38:39]
	v_mul_f64 v[28:29], v[42:43], v[36:37]
	v_fmac_f64_e32 v[2:3], v[36:37], v[40:41]
	v_fmac_f64_e32 v[28:29], v[38:39], v[40:41]
	v_add_f64 v[2:3], v[4:5], -v[2:3]
	v_add_f64 v[4:5], v[10:11], -v[28:29]
	ds_read_b128 v[28:31], v49 offset:14592
	s_waitcnt lgkmcnt(1)
	v_mul_f64 v[10:11], v[46:47], -v[8:9]
	v_fmac_f64_e32 v[10:11], v[6:7], v[16:17]
	v_mul_f64 v[6:7], v[46:47], v[6:7]
	v_fmac_f64_e32 v[6:7], v[8:9], v[16:17]
	v_add_f64 v[8:9], v[32:33], -v[10:11]
	v_add_f64 v[10:11], v[34:35], -v[6:7]
	ds_read_b128 v[32:35], v49 offset:12544
	s_waitcnt lgkmcnt(1)
	v_mul_f64 v[6:7], v[42:43], -v[30:31]
	v_fmac_f64_e32 v[6:7], v[28:29], v[40:41]
	v_mul_f64 v[28:29], v[42:43], v[28:29]
	v_fmac_f64_e32 v[28:29], v[30:31], v[40:41]
	v_add_f64 v[6:7], v[8:9], -v[6:7]
	v_add_f64 v[8:9], v[10:11], -v[28:29]
	v_mul_f64 v[10:11], v[46:47], v[14:15]
	v_fma_f64 v[10:11], -v[12:13], v[16:17], v[10:11]
	v_mul_f64 v[12:13], v[46:47], -v[12:13]
	v_fma_f64 v[12:13], -v[14:15], v[16:17], v[12:13]
	s_waitcnt lgkmcnt(0)
	v_mul_f64 v[14:15], v[42:43], v[34:35]
	v_mul_f64 v[16:17], v[42:43], -v[32:33]
	v_fma_f64 v[14:15], -v[32:33], v[40:41], v[14:15]
	v_fma_f64 v[16:17], -v[34:35], v[40:41], v[16:17]
.LBB69_22:
	s_or_b64 exec, exec, s[2:3]
	; wave barrier
	s_and_saveexec_b64 s[2:3], s[0:1]
	s_cbranch_execz .LBB69_24
; %bb.23:
	ds_write_b128 v27, v[2:5]
	ds_write_b128 v24, v[6:9]
	;; [unrolled: 1-line block ×4, first 2 shown]
.LBB69_24:
	s_or_b64 exec, exec, s[2:3]
	v_cmp_gt_u32_e32 vcc, 32, v0
	s_waitcnt lgkmcnt(0)
	; wave barrier
	s_and_saveexec_b64 s[2:3], vcc
	s_cbranch_execz .LBB69_26
; %bb.25:
	ds_read_b128 v[2:5], v27
	ds_read_b128 v[6:9], v27 offset:512
	ds_read_b128 v[10:13], v26 offset:512
	ds_read_b128 v[14:17], v25
	s_waitcnt lgkmcnt(2)
	v_mul_f64 v[28:29], v[4:5], v[6:7]
	v_mul_f64 v[26:27], v[4:5], -v[8:9]
	s_waitcnt lgkmcnt(0)
	v_mul_f64 v[32:33], v[12:13], v[14:15]
	v_fmac_f64_e32 v[28:29], v[8:9], v[2:3]
	v_mul_f64 v[30:31], v[12:13], -v[16:17]
	v_fmac_f64_e32 v[32:33], v[16:17], v[10:11]
	v_fmac_f64_e32 v[26:27], v[6:7], v[2:3]
	;; [unrolled: 1-line block ×3, first 2 shown]
	v_add_f64 v[32:33], v[28:29], -v[32:33]
	v_add_f64 v[30:31], v[26:27], -v[30:31]
	v_mul_f64 v[26:27], v[32:33], v[32:33]
	v_fmac_f64_e32 v[26:27], v[30:31], v[30:31]
	v_div_scale_f64 v[28:29], s[4:5], v[26:27], v[26:27], 1.0
	v_rcp_f64_e32 v[34:35], v[28:29]
	s_nop 0
	v_fma_f64 v[36:37], -v[28:29], v[34:35], 1.0
	v_fmac_f64_e32 v[34:35], v[34:35], v[36:37]
	v_fma_f64 v[36:37], -v[28:29], v[34:35], 1.0
	v_fmac_f64_e32 v[34:35], v[34:35], v[36:37]
	v_div_scale_f64 v[36:37], vcc, 1.0, v[26:27], 1.0
	v_mul_f64 v[38:39], v[36:37], v[34:35]
	v_fma_f64 v[28:29], -v[28:29], v[38:39], v[36:37]
	v_fma_f64 v[36:37], 0, v[32:33], v[30:31]
	s_nop 0
	v_div_fmas_f64 v[28:29], v[28:29], v[34:35], v[38:39]
	v_div_fixup_f64 v[34:35], v[28:29], v[26:27], 1.0
	ds_read_b128 v[26:29], v24
	v_fma_f64 v[30:31], v[30:31], 0, -v[32:33]
	v_mul_f64 v[36:37], v[36:37], v[34:35]
	v_mul_f64 v[34:35], v[30:31], v[34:35]
	ds_read_b128 v[30:33], v24 offset:512
	s_waitcnt lgkmcnt(1)
	v_mul_f64 v[24:25], v[28:29], -v[8:9]
	v_fmac_f64_e32 v[24:25], v[6:7], v[26:27]
	v_mul_f64 v[6:7], v[6:7], v[28:29]
	v_fmac_f64_e32 v[6:7], v[8:9], v[26:27]
	s_waitcnt lgkmcnt(0)
	v_mul_f64 v[8:9], v[32:33], -v[16:17]
	v_fmac_f64_e32 v[8:9], v[14:15], v[30:31]
	v_mul_f64 v[14:15], v[14:15], v[32:33]
	v_fmac_f64_e32 v[14:15], v[16:17], v[30:31]
	v_add_f64 v[14:15], v[6:7], -v[14:15]
	v_add_f64 v[8:9], v[24:25], -v[8:9]
	v_mul_f64 v[6:7], v[34:35], -v[14:15]
	v_fmac_f64_e32 v[6:7], v[8:9], v[36:37]
	v_mul_f64 v[8:9], v[34:35], v[8:9]
	v_fmac_f64_e32 v[8:9], v[14:15], v[36:37]
	ds_write_b128 v22, v[6:9] offset:13312
	v_mul_f64 v[6:7], v[4:5], -v[32:33]
	v_mul_f64 v[4:5], v[4:5], v[30:31]
	v_fmac_f64_e32 v[6:7], v[30:31], v[2:3]
	v_fmac_f64_e32 v[4:5], v[32:33], v[2:3]
	v_mul_f64 v[2:3], v[12:13], -v[28:29]
	v_mul_f64 v[8:9], v[12:13], v[26:27]
	v_fmac_f64_e32 v[2:3], v[26:27], v[10:11]
	v_fmac_f64_e32 v[8:9], v[28:29], v[10:11]
	v_add_f64 v[6:7], v[6:7], -v[2:3]
	v_add_f64 v[8:9], v[4:5], -v[8:9]
	v_mul_f64 v[2:3], v[34:35], -v[8:9]
	v_mul_f64 v[4:5], v[34:35], v[6:7]
	v_fmac_f64_e32 v[2:3], v[6:7], v[36:37]
	v_fmac_f64_e32 v[4:5], v[8:9], v[36:37]
	ds_write_b128 v22, v[2:5] offset:13824
.LBB69_26:
	s_or_b64 exec, exec, s[2:3]
	s_waitcnt lgkmcnt(0)
	; wave barrier
	s_and_saveexec_b64 s[2:3], s[0:1]
	s_cbranch_execz .LBB69_28
; %bb.27:
	ds_read_b128 v[2:5], v22 offset:13312
	s_waitcnt lgkmcnt(0)
	ds_write_b128 v23, v[2:5] offset:6160
.LBB69_28:
	s_or_b64 exec, exec, s[2:3]
	s_waitcnt lgkmcnt(0)
	; wave barrier
	s_and_saveexec_b64 s[2:3], s[0:1]
	s_cbranch_execz .LBB69_34
; %bb.29:
	v_mov_b32_e32 v2, 0x2000
	v_cmp_ne_u32_e32 vcc, 0, v0
	v_lshl_or_b32 v3, v0, 5, v2
	v_lshlrev_b32_e32 v2, 4, v1
                                        ; implicit-def: $vgpr0_vgpr1
	s_and_saveexec_b64 s[0:1], vcc
	s_xor_b64 s[0:1], exec, s[0:1]
	s_cbranch_execz .LBB69_31
; %bb.30:
	ds_read_b128 v[4:7], v2 offset:6128
	ds_read_b128 v[8:11], v2
	ds_read_b128 v[12:15], v3
	ds_read_b128 v[24:27], v2 offset:4096
	ds_read_b128 v[28:31], v2 offset:2048
	;; [unrolled: 1-line block ×3, first 2 shown]
	s_waitcnt lgkmcnt(4)
	v_mul_f64 v[0:1], v[6:7], -v[10:11]
	v_mul_f64 v[6:7], v[6:7], v[8:9]
	v_fmac_f64_e32 v[6:7], v[10:11], v[4:5]
	s_waitcnt lgkmcnt(1)
	v_mul_f64 v[10:11], v[30:31], v[30:31]
	v_fmac_f64_e32 v[0:1], v[8:9], v[4:5]
	v_fmac_f64_e32 v[10:11], v[28:29], v[28:29]
	v_add_f64 v[0:1], v[12:13], -v[0:1]
	v_div_scale_f64 v[12:13], s[4:5], v[10:11], v[10:11], 1.0
	v_add_f64 v[4:5], v[14:15], -v[6:7]
	v_rcp_f64_e32 v[14:15], v[12:13]
	s_waitcnt lgkmcnt(0)
	v_mul_f64 v[6:7], v[34:35], -v[26:27]
	v_fmac_f64_e32 v[6:7], v[24:25], v[32:33]
	v_add_f64 v[0:1], v[0:1], -v[6:7]
	v_fma_f64 v[6:7], -v[12:13], v[14:15], 1.0
	v_fmac_f64_e32 v[14:15], v[14:15], v[6:7]
	v_mul_f64 v[8:9], v[34:35], v[24:25]
	v_fma_f64 v[6:7], -v[12:13], v[14:15], 1.0
	v_fmac_f64_e32 v[8:9], v[26:27], v[32:33]
	v_fmac_f64_e32 v[14:15], v[14:15], v[6:7]
	v_div_scale_f64 v[6:7], vcc, 1.0, v[10:11], 1.0
	v_add_f64 v[4:5], v[4:5], -v[8:9]
	v_mul_f64 v[8:9], v[6:7], v[14:15]
	v_fma_f64 v[6:7], -v[12:13], v[8:9], v[6:7]
	s_nop 0
	v_div_fmas_f64 v[6:7], v[6:7], v[14:15], v[8:9]
	v_mul_f64 v[8:9], v[30:31], v[4:5]
	v_div_fixup_f64 v[6:7], v[6:7], v[10:11], 1.0
	v_fmac_f64_e32 v[8:9], v[0:1], v[28:29]
	v_mul_f64 v[0:1], v[30:31], -v[0:1]
	v_mul_f64 v[8:9], v[8:9], v[6:7]
	v_fmac_f64_e32 v[0:1], v[4:5], v[28:29]
	v_mul_f64 v[0:1], v[6:7], v[0:1]
	ds_write_b64 v2, v[8:9] offset:6144
                                        ; implicit-def: $vgpr3
.LBB69_31:
	s_andn2_saveexec_b64 s[0:1], s[0:1]
	s_cbranch_execz .LBB69_33
; %bb.32:
	ds_read_b128 v[4:7], v2 offset:6160
	ds_read_b128 v[8:11], v2 offset:4096
	ds_read_b128 v[12:15], v2 offset:2048
	ds_read_b128 v[24:27], v3
	s_waitcnt lgkmcnt(2)
	v_mul_f64 v[0:1], v[6:7], -v[10:11]
	v_mul_f64 v[6:7], v[6:7], v[8:9]
	v_fmac_f64_e32 v[0:1], v[8:9], v[4:5]
	s_waitcnt lgkmcnt(1)
	v_mul_f64 v[8:9], v[14:15], v[14:15]
	v_fmac_f64_e32 v[8:9], v[12:13], v[12:13]
	v_div_scale_f64 v[16:17], s[4:5], v[8:9], v[8:9], 1.0
	v_rcp_f64_e32 v[28:29], v[16:17]
	v_fmac_f64_e32 v[6:7], v[10:11], v[4:5]
	s_waitcnt lgkmcnt(0)
	v_add_f64 v[4:5], v[26:27], -v[6:7]
	v_add_f64 v[0:1], v[24:25], -v[0:1]
	v_fma_f64 v[6:7], -v[16:17], v[28:29], 1.0
	v_fmac_f64_e32 v[28:29], v[28:29], v[6:7]
	v_fma_f64 v[6:7], -v[16:17], v[28:29], 1.0
	v_fmac_f64_e32 v[28:29], v[28:29], v[6:7]
	v_div_scale_f64 v[6:7], vcc, 1.0, v[8:9], 1.0
	v_mul_f64 v[10:11], v[6:7], v[28:29]
	v_fma_f64 v[6:7], -v[16:17], v[10:11], v[6:7]
	s_nop 1
	v_div_fmas_f64 v[6:7], v[6:7], v[28:29], v[10:11]
	v_div_fixup_f64 v[6:7], v[6:7], v[8:9], 1.0
	v_mul_f64 v[8:9], v[4:5], v[14:15]
	v_fmac_f64_e32 v[8:9], v[0:1], v[12:13]
	v_mul_f64 v[0:1], v[14:15], -v[0:1]
	v_fmac_f64_e32 v[0:1], v[4:5], v[12:13]
	v_mul_f64 v[8:9], v[8:9], v[6:7]
	v_mul_f64 v[0:1], v[0:1], v[6:7]
	ds_write_b64 v2, v[8:9] offset:6144
.LBB69_33:
	s_or_b64 exec, exec, s[0:1]
	ds_write_b64 v2, v[0:1] offset:6152
.LBB69_34:
	s_or_b64 exec, exec, s[2:3]
	v_or_b32_e32 v0, 0x1800, v22
	v_or_b32_e32 v4, 0x1c00, v22
	s_waitcnt lgkmcnt(0)
	; wave barrier
	ds_read2_b64 v[0:3], v0 offset1:1
	ds_read2_b64 v[4:7], v4 offset1:1
	s_waitcnt lgkmcnt(1)
	global_store_dwordx4 v[18:19], v[0:3], off
	s_waitcnt lgkmcnt(0)
	global_store_dwordx4 v[20:21], v[4:7], off
	s_endpgm
	.section	.rodata,"a",@progbits
	.p2align	6, 0x0
	.amdhsa_kernel _ZN9rocsparseL51gtsv_nopivot_strided_batch_crpcr_pow2_shared_kernelILj64ELj64E21rocsparse_complex_numIdEEEviiiPKT1_S5_S5_PS3_
		.amdhsa_group_segment_fixed_size 15360
		.amdhsa_private_segment_fixed_size 0
		.amdhsa_kernarg_size 48
		.amdhsa_user_sgpr_count 2
		.amdhsa_user_sgpr_dispatch_ptr 0
		.amdhsa_user_sgpr_queue_ptr 0
		.amdhsa_user_sgpr_kernarg_segment_ptr 1
		.amdhsa_user_sgpr_dispatch_id 0
		.amdhsa_user_sgpr_kernarg_preload_length 0
		.amdhsa_user_sgpr_kernarg_preload_offset 0
		.amdhsa_user_sgpr_private_segment_size 0
		.amdhsa_uses_dynamic_stack 0
		.amdhsa_enable_private_segment 0
		.amdhsa_system_sgpr_workgroup_id_x 1
		.amdhsa_system_sgpr_workgroup_id_y 0
		.amdhsa_system_sgpr_workgroup_id_z 0
		.amdhsa_system_sgpr_workgroup_info 0
		.amdhsa_system_vgpr_workitem_id 0
		.amdhsa_next_free_vgpr 129
		.amdhsa_next_free_sgpr 96
		.amdhsa_accum_offset 52
		.amdhsa_reserve_vcc 1
		.amdhsa_float_round_mode_32 0
		.amdhsa_float_round_mode_16_64 0
		.amdhsa_float_denorm_mode_32 3
		.amdhsa_float_denorm_mode_16_64 3
		.amdhsa_dx10_clamp 1
		.amdhsa_ieee_mode 1
		.amdhsa_fp16_overflow 0
		.amdhsa_tg_split 0
		.amdhsa_exception_fp_ieee_invalid_op 0
		.amdhsa_exception_fp_denorm_src 0
		.amdhsa_exception_fp_ieee_div_zero 0
		.amdhsa_exception_fp_ieee_overflow 0
		.amdhsa_exception_fp_ieee_underflow 0
		.amdhsa_exception_fp_ieee_inexact 0
		.amdhsa_exception_int_div_zero 0
	.end_amdhsa_kernel
	.section	.text._ZN9rocsparseL51gtsv_nopivot_strided_batch_crpcr_pow2_shared_kernelILj64ELj64E21rocsparse_complex_numIdEEEviiiPKT1_S5_S5_PS3_,"axG",@progbits,_ZN9rocsparseL51gtsv_nopivot_strided_batch_crpcr_pow2_shared_kernelILj64ELj64E21rocsparse_complex_numIdEEEviiiPKT1_S5_S5_PS3_,comdat
.Lfunc_end69:
	.size	_ZN9rocsparseL51gtsv_nopivot_strided_batch_crpcr_pow2_shared_kernelILj64ELj64E21rocsparse_complex_numIdEEEviiiPKT1_S5_S5_PS3_, .Lfunc_end69-_ZN9rocsparseL51gtsv_nopivot_strided_batch_crpcr_pow2_shared_kernelILj64ELj64E21rocsparse_complex_numIdEEEviiiPKT1_S5_S5_PS3_
                                        ; -- End function
	.set _ZN9rocsparseL51gtsv_nopivot_strided_batch_crpcr_pow2_shared_kernelILj64ELj64E21rocsparse_complex_numIdEEEviiiPKT1_S5_S5_PS3_.num_vgpr, 51
	.set _ZN9rocsparseL51gtsv_nopivot_strided_batch_crpcr_pow2_shared_kernelILj64ELj64E21rocsparse_complex_numIdEEEviiiPKT1_S5_S5_PS3_.num_agpr, 0
	.set _ZN9rocsparseL51gtsv_nopivot_strided_batch_crpcr_pow2_shared_kernelILj64ELj64E21rocsparse_complex_numIdEEEviiiPKT1_S5_S5_PS3_.numbered_sgpr, 12
	.set _ZN9rocsparseL51gtsv_nopivot_strided_batch_crpcr_pow2_shared_kernelILj64ELj64E21rocsparse_complex_numIdEEEviiiPKT1_S5_S5_PS3_.num_named_barrier, 0
	.set _ZN9rocsparseL51gtsv_nopivot_strided_batch_crpcr_pow2_shared_kernelILj64ELj64E21rocsparse_complex_numIdEEEviiiPKT1_S5_S5_PS3_.private_seg_size, 0
	.set _ZN9rocsparseL51gtsv_nopivot_strided_batch_crpcr_pow2_shared_kernelILj64ELj64E21rocsparse_complex_numIdEEEviiiPKT1_S5_S5_PS3_.uses_vcc, 1
	.set _ZN9rocsparseL51gtsv_nopivot_strided_batch_crpcr_pow2_shared_kernelILj64ELj64E21rocsparse_complex_numIdEEEviiiPKT1_S5_S5_PS3_.uses_flat_scratch, 0
	.set _ZN9rocsparseL51gtsv_nopivot_strided_batch_crpcr_pow2_shared_kernelILj64ELj64E21rocsparse_complex_numIdEEEviiiPKT1_S5_S5_PS3_.has_dyn_sized_stack, 0
	.set _ZN9rocsparseL51gtsv_nopivot_strided_batch_crpcr_pow2_shared_kernelILj64ELj64E21rocsparse_complex_numIdEEEviiiPKT1_S5_S5_PS3_.has_recursion, 0
	.set _ZN9rocsparseL51gtsv_nopivot_strided_batch_crpcr_pow2_shared_kernelILj64ELj64E21rocsparse_complex_numIdEEEviiiPKT1_S5_S5_PS3_.has_indirect_call, 0
	.section	.AMDGPU.csdata,"",@progbits
; Kernel info:
; codeLenInByte = 5772
; TotalNumSgprs: 18
; NumVgprs: 51
; NumAgprs: 0
; TotalNumVgprs: 51
; ScratchSize: 0
; MemoryBound: 0
; FloatMode: 240
; IeeeMode: 1
; LDSByteSize: 15360 bytes/workgroup (compile time only)
; SGPRBlocks: 12
; VGPRBlocks: 16
; NumSGPRsForWavesPerEU: 102
; NumVGPRsForWavesPerEU: 129
; AccumOffset: 52
; Occupancy: 3
; WaveLimiterHint : 0
; COMPUTE_PGM_RSRC2:SCRATCH_EN: 0
; COMPUTE_PGM_RSRC2:USER_SGPR: 2
; COMPUTE_PGM_RSRC2:TRAP_HANDLER: 0
; COMPUTE_PGM_RSRC2:TGID_X_EN: 1
; COMPUTE_PGM_RSRC2:TGID_Y_EN: 0
; COMPUTE_PGM_RSRC2:TGID_Z_EN: 0
; COMPUTE_PGM_RSRC2:TIDIG_COMP_CNT: 0
; COMPUTE_PGM_RSRC3_GFX90A:ACCUM_OFFSET: 12
; COMPUTE_PGM_RSRC3_GFX90A:TG_SPLIT: 0
	.section	.text._ZN9rocsparseL51gtsv_nopivot_strided_batch_crpcr_pow2_shared_kernelILj128ELj64E21rocsparse_complex_numIdEEEviiiPKT1_S5_S5_PS3_,"axG",@progbits,_ZN9rocsparseL51gtsv_nopivot_strided_batch_crpcr_pow2_shared_kernelILj128ELj64E21rocsparse_complex_numIdEEEviiiPKT1_S5_S5_PS3_,comdat
	.globl	_ZN9rocsparseL51gtsv_nopivot_strided_batch_crpcr_pow2_shared_kernelILj128ELj64E21rocsparse_complex_numIdEEEviiiPKT1_S5_S5_PS3_ ; -- Begin function _ZN9rocsparseL51gtsv_nopivot_strided_batch_crpcr_pow2_shared_kernelILj128ELj64E21rocsparse_complex_numIdEEEviiiPKT1_S5_S5_PS3_
	.p2align	8
	.type	_ZN9rocsparseL51gtsv_nopivot_strided_batch_crpcr_pow2_shared_kernelILj128ELj64E21rocsparse_complex_numIdEEEviiiPKT1_S5_S5_PS3_,@function
_ZN9rocsparseL51gtsv_nopivot_strided_batch_crpcr_pow2_shared_kernelILj128ELj64E21rocsparse_complex_numIdEEEviiiPKT1_S5_S5_PS3_: ; @_ZN9rocsparseL51gtsv_nopivot_strided_batch_crpcr_pow2_shared_kernelILj128ELj64E21rocsparse_complex_numIdEEEviiiPKT1_S5_S5_PS3_
; %bb.0:
	s_load_dword s3, s[0:1], 0x8
	s_load_dwordx8 s[4:11], s[0:1], 0x10
	v_mov_b32_e32 v5, 0
	s_movk_i32 s0, 0x80
	v_lshlrev_b32_e32 v22, 4, v0
	s_waitcnt lgkmcnt(0)
	s_mul_i32 s3, s3, s2
	v_add_u32_e32 v2, s3, v0
	v_ashrrev_i32_e32 v3, 31, v2
	v_add_u32_e32 v4, 0x80, v2
	v_lshlrev_b64 v[2:3], 4, v[2:3]
	v_lshlrev_b64 v[4:5], 4, v[4:5]
	v_lshl_add_u64 v[14:15], s[4:5], 0, v[2:3]
	v_lshl_add_u64 v[16:17], s[4:5], 0, v[4:5]
	;; [unrolled: 1-line block ×3, first 2 shown]
	global_load_dwordx4 v[6:9], v[14:15], off
	global_load_dwordx4 v[10:13], v[16:17], off
	v_lshl_add_u64 v[20:21], s[6:7], 0, v[4:5]
	global_load_dwordx4 v[14:17], v[18:19], off
	global_load_dwordx4 v[24:27], v[20:21], off
	v_lshl_add_u64 v[18:19], s[8:9], 0, v[2:3]
	v_lshl_add_u64 v[20:21], s[8:9], 0, v[4:5]
	global_load_dwordx4 v[28:31], v[18:19], off
	global_load_dwordx4 v[32:35], v[20:21], off
	v_lshl_add_u64 v[18:19], s[10:11], 0, v[2:3]
	v_lshl_add_u64 v[20:21], s[10:11], 0, v[4:5]
	global_load_dwordx4 v[36:39], v[18:19], off
	global_load_dwordx4 v[40:43], v[20:21], off
	v_add_u32_e32 v4, 1, v0
	v_cmp_gt_u32_e64 s[0:1], s0, v0
	v_or_b32_e32 v1, 0x800, v22
	v_or_b32_e32 v2, 0x1000, v22
	;; [unrolled: 1-line block ×7, first 2 shown]
	s_waitcnt vmcnt(7)
	ds_write2_b64 v22, v[6:7], v[8:9] offset1:1
	s_waitcnt vmcnt(6)
	ds_write2_b64 v1, v[10:11], v[12:13] offset1:1
	;; [unrolled: 2-line block ×8, first 2 shown]
	s_waitcnt lgkmcnt(0)
	s_barrier
	s_and_saveexec_b64 s[2:3], s[0:1]
	s_cbranch_execz .LBB70_2
; %bb.1:
	v_lshlrev_b32_e32 v1, 5, v4
	ds_read_b128 v[6:9], v1 offset:4064
	ds_read_b128 v[10:13], v1 offset:4080
	v_lshlrev_b32_e32 v2, 1, v4
	v_min_u32_e32 v5, 0xff, v2
	v_add_u32_e32 v23, -16, v1
	s_waitcnt lgkmcnt(1)
	v_mul_f64 v[2:3], v[8:9], v[8:9]
	v_fmac_f64_e32 v[2:3], v[6:7], v[6:7]
	v_div_scale_f64 v[24:25], s[4:5], v[2:3], v[2:3], 1.0
	v_rcp_f64_e32 v[26:27], v[24:25]
	ds_read_b128 v[14:17], v23
	v_lshlrev_b32_e32 v5, 4, v5
	v_subrev_u32_e32 v32, 32, v1
	v_fma_f64 v[28:29], -v[24:25], v[26:27], 1.0
	v_fmac_f64_e32 v[26:27], v[26:27], v[28:29]
	v_fma_f64 v[28:29], -v[24:25], v[26:27], 1.0
	v_fmac_f64_e32 v[26:27], v[26:27], v[28:29]
	v_div_scale_f64 v[28:29], vcc, 1.0, v[2:3], 1.0
	v_mul_f64 v[30:31], v[28:29], v[26:27]
	v_fma_f64 v[24:25], -v[24:25], v[30:31], v[28:29]
	s_nop 1
	v_div_fmas_f64 v[24:25], v[24:25], v[26:27], v[30:31]
	ds_read_b128 v[28:31], v5 offset:4096
	v_div_fixup_f64 v[2:3], v[24:25], v[2:3], 1.0
	ds_read_b128 v[24:27], v32
	s_waitcnt lgkmcnt(2)
	v_mul_f64 v[32:33], v[8:9], v[16:17]
	v_fmac_f64_e32 v[32:33], v[14:15], v[6:7]
	v_mul_f64 v[36:37], v[2:3], v[32:33]
	v_mul_f64 v[8:9], v[8:9], -v[14:15]
	ds_read_b128 v[32:35], v5
	s_waitcnt lgkmcnt(2)
	v_mul_f64 v[14:15], v[30:31], v[30:31]
	v_fmac_f64_e32 v[14:15], v[28:29], v[28:29]
	v_div_scale_f64 v[38:39], s[4:5], v[14:15], v[14:15], 1.0
	v_rcp_f64_e32 v[40:41], v[38:39]
	v_fmac_f64_e32 v[8:9], v[16:17], v[6:7]
	v_mul_f64 v[2:3], v[2:3], v[8:9]
	ds_read_b128 v[6:9], v1 offset:8176
	v_fma_f64 v[16:17], -v[38:39], v[40:41], 1.0
	v_fmac_f64_e32 v[40:41], v[40:41], v[16:17]
	v_fma_f64 v[16:17], -v[38:39], v[40:41], 1.0
	v_fmac_f64_e32 v[40:41], v[40:41], v[16:17]
	v_div_scale_f64 v[16:17], vcc, 1.0, v[14:15], 1.0
	v_mul_f64 v[42:43], v[16:17], v[40:41]
	v_fma_f64 v[16:17], -v[38:39], v[42:43], v[16:17]
	s_nop 1
	v_div_fmas_f64 v[16:17], v[16:17], v[40:41], v[42:43]
	v_div_fixup_f64 v[38:39], v[16:17], v[14:15], 1.0
	ds_read_b128 v[14:17], v1 offset:8160
	s_waitcnt lgkmcnt(1)
	v_mul_f64 v[40:41], v[30:31], v[8:9]
	v_fmac_f64_e32 v[40:41], v[6:7], v[28:29]
	v_mul_f64 v[6:7], v[30:31], -v[6:7]
	v_fmac_f64_e32 v[6:7], v[8:9], v[28:29]
	v_mul_f64 v[28:29], v[38:39], v[6:7]
	s_waitcnt lgkmcnt(0)
	v_mul_f64 v[6:7], v[2:3], -v[16:17]
	v_mul_f64 v[8:9], v[2:3], v[14:15]
	v_fmac_f64_e32 v[6:7], v[14:15], v[36:37]
	v_fmac_f64_e32 v[8:9], v[16:17], v[36:37]
	v_mul_f64 v[40:41], v[38:39], v[40:41]
	v_add_f64 v[10:11], v[10:11], -v[6:7]
	v_add_f64 v[12:13], v[12:13], -v[8:9]
	v_mul_f64 v[14:15], v[28:29], -v[34:35]
	v_mul_f64 v[16:17], v[28:29], v[32:33]
	ds_read_b128 v[6:9], v1 offset:16352
	v_fmac_f64_e32 v[14:15], v[32:33], v[40:41]
	v_fmac_f64_e32 v[16:17], v[34:35], v[40:41]
	v_add_f64 v[10:11], v[10:11], -v[14:15]
	v_add_f64 v[12:13], v[12:13], -v[16:17]
	ds_write_b128 v1, v[10:13] offset:4080
	ds_read_b128 v[10:13], v1 offset:16368
	ds_read_b128 v[14:17], v5 offset:16384
	s_waitcnt lgkmcnt(3)
	v_mul_f64 v[30:31], v[2:3], -v[8:9]
	v_fmac_f64_e32 v[30:31], v[6:7], v[36:37]
	v_mul_f64 v[6:7], v[2:3], v[6:7]
	v_fmac_f64_e32 v[6:7], v[8:9], v[36:37]
	s_waitcnt lgkmcnt(1)
	v_add_f64 v[10:11], v[10:11], -v[30:31]
	v_add_f64 v[12:13], v[12:13], -v[6:7]
	ds_read_b128 v[6:9], v5 offset:8192
	s_waitcnt lgkmcnt(1)
	v_mul_f64 v[30:31], v[28:29], -v[16:17]
	v_fmac_f64_e32 v[30:31], v[14:15], v[40:41]
	v_mul_f64 v[14:15], v[28:29], v[14:15]
	v_fmac_f64_e32 v[14:15], v[16:17], v[40:41]
	v_add_f64 v[10:11], v[10:11], -v[30:31]
	v_add_f64 v[12:13], v[12:13], -v[14:15]
	ds_write_b128 v1, v[10:13] offset:16368
	v_mul_f64 v[10:11], v[2:3], v[26:27]
	v_mul_f64 v[2:3], v[2:3], -v[24:25]
	v_fma_f64 v[10:11], -v[24:25], v[36:37], v[10:11]
	v_fma_f64 v[12:13], -v[26:27], v[36:37], v[2:3]
	s_waitcnt lgkmcnt(1)
	v_mul_f64 v[2:3], v[28:29], v[8:9]
	ds_write_b128 v23, v[10:13]
	v_fma_f64 v[10:11], -v[6:7], v[40:41], v[2:3]
	v_mul_f64 v[2:3], v[28:29], -v[6:7]
	v_fma_f64 v[12:13], -v[8:9], v[40:41], v[2:3]
	ds_write_b128 v1, v[10:13] offset:8176
.LBB70_2:
	s_or_b64 exec, exec, s[2:3]
	v_cmp_gt_u32_e64 s[2:3], 64, v0
	v_lshlrev_b32_e32 v1, 6, v4
	s_waitcnt lgkmcnt(0)
	s_barrier
	s_and_saveexec_b64 s[4:5], s[2:3]
	s_cbranch_execz .LBB70_4
; %bb.3:
	ds_read_b128 v[6:9], v1 offset:4048
	ds_read_b128 v[10:13], v1 offset:4080
	v_lshl_or_b32 v5, v4, 2, 1
	v_add_u32_e32 v23, -16, v1
	v_min_u32_e32 v5, 0xff, v5
	s_waitcnt lgkmcnt(1)
	v_mul_f64 v[2:3], v[8:9], v[8:9]
	v_fmac_f64_e32 v[2:3], v[6:7], v[6:7]
	v_div_scale_f64 v[24:25], s[6:7], v[2:3], v[2:3], 1.0
	v_rcp_f64_e32 v[26:27], v[24:25]
	ds_read_b128 v[14:17], v23
	v_lshlrev_b32_e32 v5, 4, v5
	v_subrev_u32_e32 v32, 48, v1
	v_fma_f64 v[28:29], -v[24:25], v[26:27], 1.0
	v_fmac_f64_e32 v[26:27], v[26:27], v[28:29]
	v_fma_f64 v[28:29], -v[24:25], v[26:27], 1.0
	v_fmac_f64_e32 v[26:27], v[26:27], v[28:29]
	v_div_scale_f64 v[28:29], vcc, 1.0, v[2:3], 1.0
	v_mul_f64 v[30:31], v[28:29], v[26:27]
	v_fma_f64 v[24:25], -v[24:25], v[30:31], v[28:29]
	s_nop 1
	v_div_fmas_f64 v[24:25], v[24:25], v[26:27], v[30:31]
	ds_read_b128 v[28:31], v5 offset:4096
	v_div_fixup_f64 v[2:3], v[24:25], v[2:3], 1.0
	ds_read_b128 v[24:27], v32
	s_waitcnt lgkmcnt(2)
	v_mul_f64 v[32:33], v[8:9], v[16:17]
	v_fmac_f64_e32 v[32:33], v[14:15], v[6:7]
	v_mul_f64 v[36:37], v[2:3], v[32:33]
	v_mul_f64 v[8:9], v[8:9], -v[14:15]
	ds_read_b128 v[32:35], v5
	s_waitcnt lgkmcnt(2)
	v_mul_f64 v[14:15], v[30:31], v[30:31]
	v_fmac_f64_e32 v[14:15], v[28:29], v[28:29]
	v_div_scale_f64 v[38:39], s[6:7], v[14:15], v[14:15], 1.0
	v_rcp_f64_e32 v[40:41], v[38:39]
	v_fmac_f64_e32 v[8:9], v[16:17], v[6:7]
	v_mul_f64 v[2:3], v[2:3], v[8:9]
	ds_read_b128 v[6:9], v1 offset:8176
	v_fma_f64 v[16:17], -v[38:39], v[40:41], 1.0
	v_fmac_f64_e32 v[40:41], v[40:41], v[16:17]
	v_fma_f64 v[16:17], -v[38:39], v[40:41], 1.0
	v_fmac_f64_e32 v[40:41], v[40:41], v[16:17]
	v_div_scale_f64 v[16:17], vcc, 1.0, v[14:15], 1.0
	v_mul_f64 v[42:43], v[16:17], v[40:41]
	v_fma_f64 v[16:17], -v[38:39], v[42:43], v[16:17]
	s_nop 1
	v_div_fmas_f64 v[16:17], v[16:17], v[40:41], v[42:43]
	v_div_fixup_f64 v[38:39], v[16:17], v[14:15], 1.0
	ds_read_b128 v[14:17], v1 offset:8144
	s_waitcnt lgkmcnt(1)
	v_mul_f64 v[40:41], v[30:31], v[8:9]
	v_fmac_f64_e32 v[40:41], v[6:7], v[28:29]
	v_mul_f64 v[6:7], v[30:31], -v[6:7]
	v_fmac_f64_e32 v[6:7], v[8:9], v[28:29]
	v_mul_f64 v[28:29], v[38:39], v[6:7]
	s_waitcnt lgkmcnt(0)
	v_mul_f64 v[6:7], v[2:3], -v[16:17]
	v_mul_f64 v[8:9], v[2:3], v[14:15]
	v_fmac_f64_e32 v[6:7], v[14:15], v[36:37]
	v_fmac_f64_e32 v[8:9], v[16:17], v[36:37]
	v_mul_f64 v[40:41], v[38:39], v[40:41]
	v_add_f64 v[10:11], v[10:11], -v[6:7]
	v_add_f64 v[12:13], v[12:13], -v[8:9]
	v_mul_f64 v[14:15], v[28:29], -v[34:35]
	v_mul_f64 v[16:17], v[28:29], v[32:33]
	ds_read_b128 v[6:9], v1 offset:16336
	v_fmac_f64_e32 v[14:15], v[32:33], v[40:41]
	v_fmac_f64_e32 v[16:17], v[34:35], v[40:41]
	v_add_f64 v[10:11], v[10:11], -v[14:15]
	v_add_f64 v[12:13], v[12:13], -v[16:17]
	ds_write_b128 v1, v[10:13] offset:4080
	ds_read_b128 v[10:13], v1 offset:16368
	ds_read_b128 v[14:17], v5 offset:16384
	s_waitcnt lgkmcnt(3)
	v_mul_f64 v[30:31], v[2:3], -v[8:9]
	v_fmac_f64_e32 v[30:31], v[6:7], v[36:37]
	v_mul_f64 v[6:7], v[2:3], v[6:7]
	v_fmac_f64_e32 v[6:7], v[8:9], v[36:37]
	s_waitcnt lgkmcnt(1)
	v_add_f64 v[10:11], v[10:11], -v[30:31]
	v_add_f64 v[12:13], v[12:13], -v[6:7]
	ds_read_b128 v[6:9], v5 offset:8192
	s_waitcnt lgkmcnt(1)
	v_mul_f64 v[30:31], v[28:29], -v[16:17]
	v_fmac_f64_e32 v[30:31], v[14:15], v[40:41]
	v_mul_f64 v[14:15], v[28:29], v[14:15]
	v_fmac_f64_e32 v[14:15], v[16:17], v[40:41]
	v_add_f64 v[10:11], v[10:11], -v[30:31]
	v_add_f64 v[12:13], v[12:13], -v[14:15]
	ds_write_b128 v1, v[10:13] offset:16368
	v_mul_f64 v[10:11], v[2:3], v[26:27]
	v_mul_f64 v[2:3], v[2:3], -v[24:25]
	v_fma_f64 v[10:11], -v[24:25], v[36:37], v[10:11]
	v_fma_f64 v[12:13], -v[26:27], v[36:37], v[2:3]
	s_waitcnt lgkmcnt(1)
	v_mul_f64 v[2:3], v[28:29], v[8:9]
	ds_write_b128 v23, v[10:13]
	v_fma_f64 v[10:11], -v[6:7], v[40:41], v[2:3]
	v_mul_f64 v[2:3], v[28:29], -v[6:7]
	v_fma_f64 v[12:13], -v[8:9], v[40:41], v[2:3]
	ds_write_b128 v1, v[10:13] offset:8176
.LBB70_4:
	s_or_b64 exec, exec, s[4:5]
	s_waitcnt lgkmcnt(0)
	s_barrier
	s_and_saveexec_b64 s[4:5], s[2:3]
	s_cbranch_execz .LBB70_6
; %bb.5:
	v_add_u32_e32 v2, -16, v1
	ds_read_b128 v[6:9], v2
	ds_read_b128 v[10:13], v1 offset:4080
	ds_read_b128 v[14:17], v1 offset:8176
	;; [unrolled: 1-line block ×3, first 2 shown]
	s_waitcnt lgkmcnt(3)
	ds_write_b128 v22, v[6:9] offset:20480
	s_waitcnt lgkmcnt(3)
	ds_write_b128 v22, v[10:13] offset:21504
	;; [unrolled: 2-line block ×4, first 2 shown]
.LBB70_6:
	s_or_b64 exec, exec, s[4:5]
	v_or_b32_e32 v25, 0x5000, v22
	v_or_b32_e32 v24, 0x5800, v22
	v_add_u32_e32 v26, 0x5400, v22
	v_or_b32_e32 v23, 0x6000, v22
	s_waitcnt lgkmcnt(0)
	s_barrier
                                        ; implicit-def: $vgpr6_vgpr7
                                        ; implicit-def: $vgpr14_vgpr15
                                        ; implicit-def: $vgpr2_vgpr3
                                        ; implicit-def: $vgpr10_vgpr11
	s_and_saveexec_b64 s[4:5], s[2:3]
	s_cbranch_execz .LBB70_8
; %bb.7:
	v_sub_u32_e64 v2, v0, 1 clamp
	v_lshlrev_b32_e32 v27, 4, v2
	ds_read_b128 v[6:9], v27 offset:21504
	v_min_u32_e32 v34, 63, v4
	v_lshlrev_b32_e32 v48, 4, v34
	ds_read_b128 v[12:15], v27 offset:20480
	ds_read_b128 v[2:5], v25
	s_waitcnt lgkmcnt(2)
	v_mul_f64 v[10:11], v[8:9], v[8:9]
	v_fmac_f64_e32 v[10:11], v[6:7], v[6:7]
	v_div_scale_f64 v[16:17], s[6:7], v[10:11], v[10:11], 1.0
	v_rcp_f64_e32 v[28:29], v[16:17]
	v_div_scale_f64 v[30:31], vcc, 1.0, v[10:11], 1.0
	v_fma_f64 v[32:33], -v[16:17], v[28:29], 1.0
	v_fmac_f64_e32 v[28:29], v[28:29], v[32:33]
	v_fma_f64 v[32:33], -v[16:17], v[28:29], 1.0
	v_fmac_f64_e32 v[28:29], v[28:29], v[32:33]
	v_mul_f64 v[32:33], v[30:31], v[28:29]
	v_fma_f64 v[16:17], -v[16:17], v[32:33], v[30:31]
	v_div_fmas_f64 v[16:17], v[16:17], v[28:29], v[32:33]
	ds_read_b128 v[28:31], v48 offset:21504
	ds_read_b128 v[32:35], v24
	v_div_fixup_f64 v[10:11], v[16:17], v[10:11], 1.0
	s_waitcnt lgkmcnt(2)
	v_mul_f64 v[16:17], v[8:9], v[4:5]
	v_fmac_f64_e32 v[16:17], v[2:3], v[6:7]
	s_waitcnt lgkmcnt(1)
	v_mul_f64 v[40:41], v[30:31], v[30:31]
	v_fmac_f64_e32 v[40:41], v[28:29], v[28:29]
	v_div_scale_f64 v[42:43], s[6:7], v[40:41], v[40:41], 1.0
	v_rcp_f64_e32 v[44:45], v[42:43]
	v_mul_f64 v[2:3], v[8:9], -v[2:3]
	v_fmac_f64_e32 v[2:3], v[4:5], v[6:7]
	v_mul_f64 v[46:47], v[10:11], v[2:3]
	v_fma_f64 v[2:3], -v[42:43], v[44:45], 1.0
	v_fmac_f64_e32 v[44:45], v[44:45], v[2:3]
	v_fma_f64 v[2:3], -v[42:43], v[44:45], 1.0
	v_fmac_f64_e32 v[44:45], v[44:45], v[2:3]
	v_div_scale_f64 v[2:3], vcc, 1.0, v[40:41], 1.0
	v_mul_f64 v[4:5], v[2:3], v[44:45]
	v_fma_f64 v[2:3], -v[42:43], v[4:5], v[2:3]
	s_waitcnt lgkmcnt(0)
	v_mul_f64 v[8:9], v[30:31], -v[32:33]
	v_div_fmas_f64 v[2:3], v[2:3], v[44:45], v[4:5]
	v_div_fixup_f64 v[6:7], v[2:3], v[40:41], 1.0
	v_mul_f64 v[2:3], v[30:31], v[34:35]
	v_fmac_f64_e32 v[2:3], v[32:33], v[28:29]
	v_mul_f64 v[40:41], v[6:7], v[2:3]
	ds_read_b128 v[2:5], v27 offset:22528
	ds_read_b128 v[36:39], v48 offset:20480
	v_fmac_f64_e32 v[8:9], v[34:35], v[28:29]
	ds_read_b128 v[28:31], v26
	ds_read_b128 v[32:35], v23
	v_mul_f64 v[16:17], v[10:11], v[16:17]
	v_mul_f64 v[42:43], v[6:7], v[8:9]
	ds_read_b128 v[6:9], v27 offset:24576
	s_waitcnt lgkmcnt(4)
	v_mul_f64 v[10:11], v[46:47], -v[4:5]
	v_fmac_f64_e32 v[10:11], v[2:3], v[16:17]
	v_mul_f64 v[2:3], v[46:47], v[2:3]
	v_fmac_f64_e32 v[2:3], v[4:5], v[16:17]
	s_waitcnt lgkmcnt(2)
	v_add_f64 v[4:5], v[28:29], -v[10:11]
	v_add_f64 v[10:11], v[30:31], -v[2:3]
	v_mul_f64 v[2:3], v[42:43], -v[38:39]
	v_mul_f64 v[28:29], v[42:43], v[36:37]
	v_fmac_f64_e32 v[2:3], v[36:37], v[40:41]
	v_fmac_f64_e32 v[28:29], v[38:39], v[40:41]
	v_add_f64 v[2:3], v[4:5], -v[2:3]
	v_add_f64 v[4:5], v[10:11], -v[28:29]
	ds_read_b128 v[28:31], v48 offset:24576
	s_waitcnt lgkmcnt(1)
	v_mul_f64 v[10:11], v[46:47], -v[8:9]
	v_fmac_f64_e32 v[10:11], v[6:7], v[16:17]
	v_mul_f64 v[6:7], v[46:47], v[6:7]
	v_fmac_f64_e32 v[6:7], v[8:9], v[16:17]
	v_add_f64 v[8:9], v[32:33], -v[10:11]
	v_add_f64 v[10:11], v[34:35], -v[6:7]
	ds_read_b128 v[32:35], v48 offset:22528
	s_waitcnt lgkmcnt(1)
	v_mul_f64 v[6:7], v[42:43], -v[30:31]
	v_fmac_f64_e32 v[6:7], v[28:29], v[40:41]
	v_mul_f64 v[28:29], v[42:43], v[28:29]
	v_fmac_f64_e32 v[28:29], v[30:31], v[40:41]
	v_add_f64 v[6:7], v[8:9], -v[6:7]
	v_add_f64 v[8:9], v[10:11], -v[28:29]
	v_mul_f64 v[10:11], v[46:47], v[14:15]
	v_fma_f64 v[10:11], -v[12:13], v[16:17], v[10:11]
	v_mul_f64 v[12:13], v[46:47], -v[12:13]
	v_fma_f64 v[12:13], -v[14:15], v[16:17], v[12:13]
	s_waitcnt lgkmcnt(0)
	v_mul_f64 v[14:15], v[42:43], v[34:35]
	v_mul_f64 v[16:17], v[42:43], -v[32:33]
	v_fma_f64 v[14:15], -v[32:33], v[40:41], v[14:15]
	v_fma_f64 v[16:17], -v[34:35], v[40:41], v[16:17]
.LBB70_8:
	s_or_b64 exec, exec, s[4:5]
	s_barrier
	s_and_saveexec_b64 s[4:5], s[2:3]
	s_cbranch_execz .LBB70_10
; %bb.9:
	ds_write_b128 v26, v[2:5]
	ds_write_b128 v23, v[6:9]
	;; [unrolled: 1-line block ×4, first 2 shown]
.LBB70_10:
	s_or_b64 exec, exec, s[4:5]
	s_waitcnt lgkmcnt(0)
	s_barrier
	s_and_saveexec_b64 s[4:5], s[2:3]
	s_cbranch_execz .LBB70_12
; %bb.11:
	v_sub_u32_e64 v2, v0, 2 clamp
	v_lshlrev_b32_e32 v27, 4, v2
	ds_read_b128 v[2:5], v27 offset:21504
	v_min_u32_e32 v34, 61, v0
	v_lshlrev_b32_e32 v48, 4, v34
	ds_read_b128 v[12:15], v27 offset:20480
	ds_read_b128 v[6:9], v25
	s_waitcnt lgkmcnt(2)
	v_mul_f64 v[10:11], v[4:5], v[4:5]
	v_fmac_f64_e32 v[10:11], v[2:3], v[2:3]
	v_div_scale_f64 v[16:17], s[6:7], v[10:11], v[10:11], 1.0
	v_rcp_f64_e32 v[28:29], v[16:17]
	v_div_scale_f64 v[30:31], vcc, 1.0, v[10:11], 1.0
	v_fma_f64 v[32:33], -v[16:17], v[28:29], 1.0
	v_fmac_f64_e32 v[28:29], v[28:29], v[32:33]
	v_fma_f64 v[32:33], -v[16:17], v[28:29], 1.0
	v_fmac_f64_e32 v[28:29], v[28:29], v[32:33]
	v_mul_f64 v[32:33], v[30:31], v[28:29]
	v_fma_f64 v[16:17], -v[16:17], v[32:33], v[30:31]
	v_div_fmas_f64 v[16:17], v[16:17], v[28:29], v[32:33]
	ds_read_b128 v[28:31], v48 offset:21536
	ds_read_b128 v[32:35], v24
	v_div_fixup_f64 v[10:11], v[16:17], v[10:11], 1.0
	s_waitcnt lgkmcnt(2)
	v_mul_f64 v[16:17], v[4:5], v[8:9]
	v_mul_f64 v[4:5], v[4:5], -v[6:7]
	s_waitcnt lgkmcnt(1)
	v_mul_f64 v[40:41], v[30:31], v[30:31]
	v_fmac_f64_e32 v[40:41], v[28:29], v[28:29]
	v_div_scale_f64 v[42:43], s[6:7], v[40:41], v[40:41], 1.0
	v_rcp_f64_e32 v[44:45], v[42:43]
	v_fmac_f64_e32 v[16:17], v[6:7], v[2:3]
	v_fmac_f64_e32 v[4:5], v[8:9], v[2:3]
	v_mul_f64 v[46:47], v[10:11], v[4:5]
	v_fma_f64 v[2:3], -v[42:43], v[44:45], 1.0
	v_fmac_f64_e32 v[44:45], v[44:45], v[2:3]
	v_fma_f64 v[2:3], -v[42:43], v[44:45], 1.0
	v_fmac_f64_e32 v[44:45], v[44:45], v[2:3]
	v_div_scale_f64 v[2:3], vcc, 1.0, v[40:41], 1.0
	v_mul_f64 v[4:5], v[2:3], v[44:45]
	v_fma_f64 v[2:3], -v[42:43], v[4:5], v[2:3]
	s_waitcnt lgkmcnt(0)
	v_mul_f64 v[8:9], v[30:31], -v[32:33]
	v_div_fmas_f64 v[2:3], v[2:3], v[44:45], v[4:5]
	v_div_fixup_f64 v[6:7], v[2:3], v[40:41], 1.0
	v_mul_f64 v[2:3], v[30:31], v[34:35]
	v_fmac_f64_e32 v[2:3], v[32:33], v[28:29]
	v_mul_f64 v[40:41], v[6:7], v[2:3]
	ds_read_b128 v[2:5], v27 offset:22528
	ds_read_b128 v[36:39], v48 offset:20512
	v_fmac_f64_e32 v[8:9], v[34:35], v[28:29]
	ds_read_b128 v[28:31], v26
	ds_read_b128 v[32:35], v23
	v_mul_f64 v[16:17], v[10:11], v[16:17]
	v_mul_f64 v[42:43], v[6:7], v[8:9]
	ds_read_b128 v[6:9], v27 offset:24576
	s_waitcnt lgkmcnt(4)
	v_mul_f64 v[10:11], v[46:47], -v[4:5]
	v_fmac_f64_e32 v[10:11], v[2:3], v[16:17]
	v_mul_f64 v[2:3], v[46:47], v[2:3]
	v_fmac_f64_e32 v[2:3], v[4:5], v[16:17]
	s_waitcnt lgkmcnt(2)
	v_add_f64 v[4:5], v[28:29], -v[10:11]
	v_add_f64 v[10:11], v[30:31], -v[2:3]
	v_mul_f64 v[2:3], v[42:43], -v[38:39]
	v_mul_f64 v[28:29], v[42:43], v[36:37]
	v_fmac_f64_e32 v[2:3], v[36:37], v[40:41]
	v_fmac_f64_e32 v[28:29], v[38:39], v[40:41]
	v_add_f64 v[2:3], v[4:5], -v[2:3]
	v_add_f64 v[4:5], v[10:11], -v[28:29]
	ds_read_b128 v[28:31], v48 offset:24608
	s_waitcnt lgkmcnt(1)
	v_mul_f64 v[10:11], v[46:47], -v[8:9]
	v_fmac_f64_e32 v[10:11], v[6:7], v[16:17]
	v_mul_f64 v[6:7], v[46:47], v[6:7]
	v_fmac_f64_e32 v[6:7], v[8:9], v[16:17]
	v_add_f64 v[8:9], v[32:33], -v[10:11]
	v_add_f64 v[10:11], v[34:35], -v[6:7]
	ds_read_b128 v[32:35], v48 offset:22560
	s_waitcnt lgkmcnt(1)
	v_mul_f64 v[6:7], v[42:43], -v[30:31]
	v_fmac_f64_e32 v[6:7], v[28:29], v[40:41]
	v_mul_f64 v[28:29], v[42:43], v[28:29]
	v_fmac_f64_e32 v[28:29], v[30:31], v[40:41]
	v_add_f64 v[6:7], v[8:9], -v[6:7]
	v_add_f64 v[8:9], v[10:11], -v[28:29]
	v_mul_f64 v[10:11], v[46:47], v[14:15]
	v_fma_f64 v[10:11], -v[12:13], v[16:17], v[10:11]
	v_mul_f64 v[12:13], v[46:47], -v[12:13]
	v_fma_f64 v[12:13], -v[14:15], v[16:17], v[12:13]
	s_waitcnt lgkmcnt(0)
	v_mul_f64 v[14:15], v[42:43], v[34:35]
	v_mul_f64 v[16:17], v[42:43], -v[32:33]
	v_fma_f64 v[14:15], -v[32:33], v[40:41], v[14:15]
	v_fma_f64 v[16:17], -v[34:35], v[40:41], v[16:17]
.LBB70_12:
	s_or_b64 exec, exec, s[4:5]
	s_barrier
	s_and_saveexec_b64 s[4:5], s[2:3]
	s_cbranch_execz .LBB70_14
; %bb.13:
	ds_write_b128 v26, v[2:5]
	ds_write_b128 v23, v[6:9]
	;; [unrolled: 1-line block ×4, first 2 shown]
.LBB70_14:
	s_or_b64 exec, exec, s[4:5]
	s_waitcnt lgkmcnt(0)
	s_barrier
	s_and_saveexec_b64 s[4:5], s[2:3]
	s_cbranch_execz .LBB70_16
; %bb.15:
	v_sub_u32_e64 v2, v0, 4 clamp
	v_lshlrev_b32_e32 v27, 4, v2
	ds_read_b128 v[2:5], v27 offset:21504
	v_min_u32_e32 v34, 59, v0
	v_lshlrev_b32_e32 v48, 4, v34
	ds_read_b128 v[12:15], v27 offset:20480
	ds_read_b128 v[6:9], v25
	s_waitcnt lgkmcnt(2)
	v_mul_f64 v[10:11], v[4:5], v[4:5]
	v_fmac_f64_e32 v[10:11], v[2:3], v[2:3]
	v_div_scale_f64 v[16:17], s[6:7], v[10:11], v[10:11], 1.0
	v_rcp_f64_e32 v[28:29], v[16:17]
	v_div_scale_f64 v[30:31], vcc, 1.0, v[10:11], 1.0
	v_fma_f64 v[32:33], -v[16:17], v[28:29], 1.0
	v_fmac_f64_e32 v[28:29], v[28:29], v[32:33]
	v_fma_f64 v[32:33], -v[16:17], v[28:29], 1.0
	v_fmac_f64_e32 v[28:29], v[28:29], v[32:33]
	v_mul_f64 v[32:33], v[30:31], v[28:29]
	v_fma_f64 v[16:17], -v[16:17], v[32:33], v[30:31]
	v_div_fmas_f64 v[16:17], v[16:17], v[28:29], v[32:33]
	ds_read_b128 v[28:31], v48 offset:21568
	ds_read_b128 v[32:35], v24
	v_div_fixup_f64 v[10:11], v[16:17], v[10:11], 1.0
	s_waitcnt lgkmcnt(2)
	v_mul_f64 v[16:17], v[4:5], v[8:9]
	v_mul_f64 v[4:5], v[4:5], -v[6:7]
	s_waitcnt lgkmcnt(1)
	v_mul_f64 v[40:41], v[30:31], v[30:31]
	v_fmac_f64_e32 v[40:41], v[28:29], v[28:29]
	v_div_scale_f64 v[42:43], s[6:7], v[40:41], v[40:41], 1.0
	v_rcp_f64_e32 v[44:45], v[42:43]
	v_fmac_f64_e32 v[16:17], v[6:7], v[2:3]
	v_fmac_f64_e32 v[4:5], v[8:9], v[2:3]
	v_mul_f64 v[46:47], v[10:11], v[4:5]
	v_fma_f64 v[2:3], -v[42:43], v[44:45], 1.0
	v_fmac_f64_e32 v[44:45], v[44:45], v[2:3]
	v_fma_f64 v[2:3], -v[42:43], v[44:45], 1.0
	v_fmac_f64_e32 v[44:45], v[44:45], v[2:3]
	v_div_scale_f64 v[2:3], vcc, 1.0, v[40:41], 1.0
	v_mul_f64 v[4:5], v[2:3], v[44:45]
	v_fma_f64 v[2:3], -v[42:43], v[4:5], v[2:3]
	s_waitcnt lgkmcnt(0)
	v_mul_f64 v[8:9], v[30:31], -v[32:33]
	v_div_fmas_f64 v[2:3], v[2:3], v[44:45], v[4:5]
	v_div_fixup_f64 v[6:7], v[2:3], v[40:41], 1.0
	v_mul_f64 v[2:3], v[30:31], v[34:35]
	v_fmac_f64_e32 v[2:3], v[32:33], v[28:29]
	v_mul_f64 v[40:41], v[6:7], v[2:3]
	ds_read_b128 v[2:5], v27 offset:22528
	ds_read_b128 v[36:39], v48 offset:20544
	v_fmac_f64_e32 v[8:9], v[34:35], v[28:29]
	ds_read_b128 v[28:31], v26
	ds_read_b128 v[32:35], v23
	v_mul_f64 v[16:17], v[10:11], v[16:17]
	v_mul_f64 v[42:43], v[6:7], v[8:9]
	ds_read_b128 v[6:9], v27 offset:24576
	s_waitcnt lgkmcnt(4)
	v_mul_f64 v[10:11], v[46:47], -v[4:5]
	v_fmac_f64_e32 v[10:11], v[2:3], v[16:17]
	v_mul_f64 v[2:3], v[46:47], v[2:3]
	v_fmac_f64_e32 v[2:3], v[4:5], v[16:17]
	s_waitcnt lgkmcnt(2)
	v_add_f64 v[4:5], v[28:29], -v[10:11]
	v_add_f64 v[10:11], v[30:31], -v[2:3]
	v_mul_f64 v[2:3], v[42:43], -v[38:39]
	v_mul_f64 v[28:29], v[42:43], v[36:37]
	v_fmac_f64_e32 v[2:3], v[36:37], v[40:41]
	v_fmac_f64_e32 v[28:29], v[38:39], v[40:41]
	v_add_f64 v[2:3], v[4:5], -v[2:3]
	v_add_f64 v[4:5], v[10:11], -v[28:29]
	ds_read_b128 v[28:31], v48 offset:24640
	s_waitcnt lgkmcnt(1)
	v_mul_f64 v[10:11], v[46:47], -v[8:9]
	v_fmac_f64_e32 v[10:11], v[6:7], v[16:17]
	v_mul_f64 v[6:7], v[46:47], v[6:7]
	v_fmac_f64_e32 v[6:7], v[8:9], v[16:17]
	v_add_f64 v[8:9], v[32:33], -v[10:11]
	v_add_f64 v[10:11], v[34:35], -v[6:7]
	ds_read_b128 v[32:35], v48 offset:22592
	s_waitcnt lgkmcnt(1)
	v_mul_f64 v[6:7], v[42:43], -v[30:31]
	v_fmac_f64_e32 v[6:7], v[28:29], v[40:41]
	v_mul_f64 v[28:29], v[42:43], v[28:29]
	v_fmac_f64_e32 v[28:29], v[30:31], v[40:41]
	v_add_f64 v[6:7], v[8:9], -v[6:7]
	v_add_f64 v[8:9], v[10:11], -v[28:29]
	v_mul_f64 v[10:11], v[46:47], v[14:15]
	v_fma_f64 v[10:11], -v[12:13], v[16:17], v[10:11]
	v_mul_f64 v[12:13], v[46:47], -v[12:13]
	v_fma_f64 v[12:13], -v[14:15], v[16:17], v[12:13]
	s_waitcnt lgkmcnt(0)
	v_mul_f64 v[14:15], v[42:43], v[34:35]
	v_mul_f64 v[16:17], v[42:43], -v[32:33]
	v_fma_f64 v[14:15], -v[32:33], v[40:41], v[14:15]
	v_fma_f64 v[16:17], -v[34:35], v[40:41], v[16:17]
.LBB70_16:
	s_or_b64 exec, exec, s[4:5]
	s_barrier
	s_and_saveexec_b64 s[4:5], s[2:3]
	s_cbranch_execz .LBB70_18
; %bb.17:
	ds_write_b128 v26, v[2:5]
	ds_write_b128 v23, v[6:9]
	ds_write_b128 v25, v[10:13]
	ds_write_b128 v24, v[14:17]
.LBB70_18:
	s_or_b64 exec, exec, s[4:5]
	s_waitcnt lgkmcnt(0)
	s_barrier
	s_and_saveexec_b64 s[4:5], s[2:3]
	s_cbranch_execz .LBB70_20
; %bb.19:
	v_sub_u32_e64 v2, v0, 8 clamp
	v_lshlrev_b32_e32 v27, 4, v2
	ds_read_b128 v[2:5], v27 offset:21504
	v_min_u32_e32 v34, 55, v0
	v_lshlrev_b32_e32 v48, 4, v34
	ds_read_b128 v[12:15], v27 offset:20480
	ds_read_b128 v[6:9], v25
	s_waitcnt lgkmcnt(2)
	v_mul_f64 v[10:11], v[4:5], v[4:5]
	v_fmac_f64_e32 v[10:11], v[2:3], v[2:3]
	v_div_scale_f64 v[16:17], s[6:7], v[10:11], v[10:11], 1.0
	v_rcp_f64_e32 v[28:29], v[16:17]
	v_div_scale_f64 v[30:31], vcc, 1.0, v[10:11], 1.0
	v_fma_f64 v[32:33], -v[16:17], v[28:29], 1.0
	v_fmac_f64_e32 v[28:29], v[28:29], v[32:33]
	v_fma_f64 v[32:33], -v[16:17], v[28:29], 1.0
	v_fmac_f64_e32 v[28:29], v[28:29], v[32:33]
	v_mul_f64 v[32:33], v[30:31], v[28:29]
	v_fma_f64 v[16:17], -v[16:17], v[32:33], v[30:31]
	v_div_fmas_f64 v[16:17], v[16:17], v[28:29], v[32:33]
	ds_read_b128 v[28:31], v48 offset:21632
	ds_read_b128 v[32:35], v24
	v_div_fixup_f64 v[10:11], v[16:17], v[10:11], 1.0
	s_waitcnt lgkmcnt(2)
	v_mul_f64 v[16:17], v[4:5], v[8:9]
	v_mul_f64 v[4:5], v[4:5], -v[6:7]
	s_waitcnt lgkmcnt(1)
	v_mul_f64 v[40:41], v[30:31], v[30:31]
	v_fmac_f64_e32 v[40:41], v[28:29], v[28:29]
	v_div_scale_f64 v[42:43], s[6:7], v[40:41], v[40:41], 1.0
	v_rcp_f64_e32 v[44:45], v[42:43]
	v_fmac_f64_e32 v[16:17], v[6:7], v[2:3]
	v_fmac_f64_e32 v[4:5], v[8:9], v[2:3]
	v_mul_f64 v[46:47], v[10:11], v[4:5]
	v_fma_f64 v[2:3], -v[42:43], v[44:45], 1.0
	v_fmac_f64_e32 v[44:45], v[44:45], v[2:3]
	v_fma_f64 v[2:3], -v[42:43], v[44:45], 1.0
	v_fmac_f64_e32 v[44:45], v[44:45], v[2:3]
	v_div_scale_f64 v[2:3], vcc, 1.0, v[40:41], 1.0
	v_mul_f64 v[4:5], v[2:3], v[44:45]
	v_fma_f64 v[2:3], -v[42:43], v[4:5], v[2:3]
	s_waitcnt lgkmcnt(0)
	v_mul_f64 v[8:9], v[30:31], -v[32:33]
	v_div_fmas_f64 v[2:3], v[2:3], v[44:45], v[4:5]
	v_div_fixup_f64 v[6:7], v[2:3], v[40:41], 1.0
	v_mul_f64 v[2:3], v[30:31], v[34:35]
	v_fmac_f64_e32 v[2:3], v[32:33], v[28:29]
	v_mul_f64 v[40:41], v[6:7], v[2:3]
	ds_read_b128 v[2:5], v27 offset:22528
	ds_read_b128 v[36:39], v48 offset:20608
	v_fmac_f64_e32 v[8:9], v[34:35], v[28:29]
	ds_read_b128 v[28:31], v26
	ds_read_b128 v[32:35], v23
	v_mul_f64 v[16:17], v[10:11], v[16:17]
	v_mul_f64 v[42:43], v[6:7], v[8:9]
	ds_read_b128 v[6:9], v27 offset:24576
	s_waitcnt lgkmcnt(4)
	v_mul_f64 v[10:11], v[46:47], -v[4:5]
	v_fmac_f64_e32 v[10:11], v[2:3], v[16:17]
	v_mul_f64 v[2:3], v[46:47], v[2:3]
	v_fmac_f64_e32 v[2:3], v[4:5], v[16:17]
	s_waitcnt lgkmcnt(2)
	v_add_f64 v[4:5], v[28:29], -v[10:11]
	v_add_f64 v[10:11], v[30:31], -v[2:3]
	v_mul_f64 v[2:3], v[42:43], -v[38:39]
	v_mul_f64 v[28:29], v[42:43], v[36:37]
	v_fmac_f64_e32 v[2:3], v[36:37], v[40:41]
	v_fmac_f64_e32 v[28:29], v[38:39], v[40:41]
	v_add_f64 v[2:3], v[4:5], -v[2:3]
	v_add_f64 v[4:5], v[10:11], -v[28:29]
	ds_read_b128 v[28:31], v48 offset:24704
	s_waitcnt lgkmcnt(1)
	v_mul_f64 v[10:11], v[46:47], -v[8:9]
	v_fmac_f64_e32 v[10:11], v[6:7], v[16:17]
	v_mul_f64 v[6:7], v[46:47], v[6:7]
	v_fmac_f64_e32 v[6:7], v[8:9], v[16:17]
	v_add_f64 v[8:9], v[32:33], -v[10:11]
	v_add_f64 v[10:11], v[34:35], -v[6:7]
	ds_read_b128 v[32:35], v48 offset:22656
	s_waitcnt lgkmcnt(1)
	v_mul_f64 v[6:7], v[42:43], -v[30:31]
	v_fmac_f64_e32 v[6:7], v[28:29], v[40:41]
	v_mul_f64 v[28:29], v[42:43], v[28:29]
	v_fmac_f64_e32 v[28:29], v[30:31], v[40:41]
	v_add_f64 v[6:7], v[8:9], -v[6:7]
	v_add_f64 v[8:9], v[10:11], -v[28:29]
	v_mul_f64 v[10:11], v[46:47], v[14:15]
	v_fma_f64 v[10:11], -v[12:13], v[16:17], v[10:11]
	v_mul_f64 v[12:13], v[46:47], -v[12:13]
	v_fma_f64 v[12:13], -v[14:15], v[16:17], v[12:13]
	s_waitcnt lgkmcnt(0)
	v_mul_f64 v[14:15], v[42:43], v[34:35]
	v_mul_f64 v[16:17], v[42:43], -v[32:33]
	v_fma_f64 v[14:15], -v[32:33], v[40:41], v[14:15]
	v_fma_f64 v[16:17], -v[34:35], v[40:41], v[16:17]
.LBB70_20:
	s_or_b64 exec, exec, s[4:5]
	s_barrier
	s_and_saveexec_b64 s[4:5], s[2:3]
	s_cbranch_execz .LBB70_22
; %bb.21:
	ds_write_b128 v26, v[2:5]
	ds_write_b128 v23, v[6:9]
	;; [unrolled: 1-line block ×4, first 2 shown]
.LBB70_22:
	s_or_b64 exec, exec, s[4:5]
	s_waitcnt lgkmcnt(0)
	s_barrier
	s_and_saveexec_b64 s[4:5], s[2:3]
	s_cbranch_execz .LBB70_24
; %bb.23:
	v_sub_u32_e64 v2, v0, 16 clamp
	v_lshlrev_b32_e32 v27, 4, v2
	ds_read_b128 v[2:5], v27 offset:21504
	v_min_u32_e32 v34, 47, v0
	v_lshlrev_b32_e32 v48, 4, v34
	ds_read_b128 v[12:15], v27 offset:20480
	ds_read_b128 v[6:9], v25
	s_waitcnt lgkmcnt(2)
	v_mul_f64 v[10:11], v[4:5], v[4:5]
	v_fmac_f64_e32 v[10:11], v[2:3], v[2:3]
	v_div_scale_f64 v[16:17], s[6:7], v[10:11], v[10:11], 1.0
	v_rcp_f64_e32 v[28:29], v[16:17]
	v_div_scale_f64 v[30:31], vcc, 1.0, v[10:11], 1.0
	v_fma_f64 v[32:33], -v[16:17], v[28:29], 1.0
	v_fmac_f64_e32 v[28:29], v[28:29], v[32:33]
	v_fma_f64 v[32:33], -v[16:17], v[28:29], 1.0
	v_fmac_f64_e32 v[28:29], v[28:29], v[32:33]
	v_mul_f64 v[32:33], v[30:31], v[28:29]
	v_fma_f64 v[16:17], -v[16:17], v[32:33], v[30:31]
	v_div_fmas_f64 v[16:17], v[16:17], v[28:29], v[32:33]
	ds_read_b128 v[28:31], v48 offset:21760
	ds_read_b128 v[32:35], v24
	v_div_fixup_f64 v[10:11], v[16:17], v[10:11], 1.0
	s_waitcnt lgkmcnt(2)
	v_mul_f64 v[16:17], v[4:5], v[8:9]
	v_mul_f64 v[4:5], v[4:5], -v[6:7]
	s_waitcnt lgkmcnt(1)
	v_mul_f64 v[40:41], v[30:31], v[30:31]
	v_fmac_f64_e32 v[40:41], v[28:29], v[28:29]
	v_div_scale_f64 v[42:43], s[6:7], v[40:41], v[40:41], 1.0
	v_rcp_f64_e32 v[44:45], v[42:43]
	v_fmac_f64_e32 v[16:17], v[6:7], v[2:3]
	v_fmac_f64_e32 v[4:5], v[8:9], v[2:3]
	v_mul_f64 v[46:47], v[10:11], v[4:5]
	v_fma_f64 v[2:3], -v[42:43], v[44:45], 1.0
	v_fmac_f64_e32 v[44:45], v[44:45], v[2:3]
	v_fma_f64 v[2:3], -v[42:43], v[44:45], 1.0
	v_fmac_f64_e32 v[44:45], v[44:45], v[2:3]
	v_div_scale_f64 v[2:3], vcc, 1.0, v[40:41], 1.0
	v_mul_f64 v[4:5], v[2:3], v[44:45]
	v_fma_f64 v[2:3], -v[42:43], v[4:5], v[2:3]
	s_waitcnt lgkmcnt(0)
	v_mul_f64 v[8:9], v[30:31], -v[32:33]
	v_div_fmas_f64 v[2:3], v[2:3], v[44:45], v[4:5]
	v_div_fixup_f64 v[6:7], v[2:3], v[40:41], 1.0
	v_mul_f64 v[2:3], v[30:31], v[34:35]
	v_fmac_f64_e32 v[2:3], v[32:33], v[28:29]
	v_mul_f64 v[40:41], v[6:7], v[2:3]
	ds_read_b128 v[2:5], v27 offset:22528
	ds_read_b128 v[36:39], v48 offset:20736
	v_fmac_f64_e32 v[8:9], v[34:35], v[28:29]
	ds_read_b128 v[28:31], v26
	ds_read_b128 v[32:35], v23
	v_mul_f64 v[16:17], v[10:11], v[16:17]
	v_mul_f64 v[42:43], v[6:7], v[8:9]
	ds_read_b128 v[6:9], v27 offset:24576
	s_waitcnt lgkmcnt(4)
	v_mul_f64 v[10:11], v[46:47], -v[4:5]
	v_fmac_f64_e32 v[10:11], v[2:3], v[16:17]
	v_mul_f64 v[2:3], v[46:47], v[2:3]
	v_fmac_f64_e32 v[2:3], v[4:5], v[16:17]
	s_waitcnt lgkmcnt(2)
	v_add_f64 v[4:5], v[28:29], -v[10:11]
	v_add_f64 v[10:11], v[30:31], -v[2:3]
	v_mul_f64 v[2:3], v[42:43], -v[38:39]
	v_mul_f64 v[28:29], v[42:43], v[36:37]
	v_fmac_f64_e32 v[2:3], v[36:37], v[40:41]
	v_fmac_f64_e32 v[28:29], v[38:39], v[40:41]
	v_add_f64 v[2:3], v[4:5], -v[2:3]
	v_add_f64 v[4:5], v[10:11], -v[28:29]
	ds_read_b128 v[28:31], v48 offset:24832
	s_waitcnt lgkmcnt(1)
	v_mul_f64 v[10:11], v[46:47], -v[8:9]
	v_fmac_f64_e32 v[10:11], v[6:7], v[16:17]
	v_mul_f64 v[6:7], v[46:47], v[6:7]
	v_fmac_f64_e32 v[6:7], v[8:9], v[16:17]
	v_add_f64 v[8:9], v[32:33], -v[10:11]
	v_add_f64 v[10:11], v[34:35], -v[6:7]
	ds_read_b128 v[32:35], v48 offset:22784
	s_waitcnt lgkmcnt(1)
	v_mul_f64 v[6:7], v[42:43], -v[30:31]
	v_fmac_f64_e32 v[6:7], v[28:29], v[40:41]
	v_mul_f64 v[28:29], v[42:43], v[28:29]
	v_fmac_f64_e32 v[28:29], v[30:31], v[40:41]
	v_add_f64 v[6:7], v[8:9], -v[6:7]
	v_add_f64 v[8:9], v[10:11], -v[28:29]
	v_mul_f64 v[10:11], v[46:47], v[14:15]
	v_fma_f64 v[10:11], -v[12:13], v[16:17], v[10:11]
	v_mul_f64 v[12:13], v[46:47], -v[12:13]
	v_fma_f64 v[12:13], -v[14:15], v[16:17], v[12:13]
	s_waitcnt lgkmcnt(0)
	v_mul_f64 v[14:15], v[42:43], v[34:35]
	v_mul_f64 v[16:17], v[42:43], -v[32:33]
	v_fma_f64 v[14:15], -v[32:33], v[40:41], v[14:15]
	v_fma_f64 v[16:17], -v[34:35], v[40:41], v[16:17]
.LBB70_24:
	s_or_b64 exec, exec, s[4:5]
	s_barrier
	s_and_saveexec_b64 s[4:5], s[2:3]
	s_cbranch_execz .LBB70_26
; %bb.25:
	ds_write_b128 v26, v[2:5]
	ds_write_b128 v23, v[6:9]
	ds_write_b128 v25, v[10:13]
	ds_write_b128 v24, v[14:17]
.LBB70_26:
	s_or_b64 exec, exec, s[4:5]
	v_cmp_gt_u32_e32 vcc, 32, v0
	s_waitcnt lgkmcnt(0)
	s_barrier
	s_and_saveexec_b64 s[4:5], vcc
	s_cbranch_execz .LBB70_28
; %bb.27:
	ds_read_b128 v[2:5], v26
	ds_read_b128 v[6:9], v26 offset:512
	ds_read_b128 v[10:13], v25 offset:512
	ds_read_b128 v[14:17], v24
	s_waitcnt lgkmcnt(2)
	v_mul_f64 v[26:27], v[4:5], v[6:7]
	v_mul_f64 v[24:25], v[4:5], -v[8:9]
	s_waitcnt lgkmcnt(0)
	v_mul_f64 v[30:31], v[12:13], v[14:15]
	v_fmac_f64_e32 v[26:27], v[8:9], v[2:3]
	v_mul_f64 v[28:29], v[12:13], -v[16:17]
	v_fmac_f64_e32 v[30:31], v[16:17], v[10:11]
	v_fmac_f64_e32 v[24:25], v[6:7], v[2:3]
	;; [unrolled: 1-line block ×3, first 2 shown]
	v_add_f64 v[30:31], v[26:27], -v[30:31]
	v_add_f64 v[28:29], v[24:25], -v[28:29]
	v_mul_f64 v[24:25], v[30:31], v[30:31]
	v_fmac_f64_e32 v[24:25], v[28:29], v[28:29]
	v_div_scale_f64 v[26:27], s[6:7], v[24:25], v[24:25], 1.0
	v_rcp_f64_e32 v[32:33], v[26:27]
	s_nop 0
	v_fma_f64 v[34:35], -v[26:27], v[32:33], 1.0
	v_fmac_f64_e32 v[32:33], v[32:33], v[34:35]
	v_fma_f64 v[34:35], -v[26:27], v[32:33], 1.0
	v_fmac_f64_e32 v[32:33], v[32:33], v[34:35]
	v_div_scale_f64 v[34:35], vcc, 1.0, v[24:25], 1.0
	v_mul_f64 v[36:37], v[34:35], v[32:33]
	v_fma_f64 v[26:27], -v[26:27], v[36:37], v[34:35]
	v_fma_f64 v[34:35], 0, v[30:31], v[28:29]
	s_nop 0
	v_div_fmas_f64 v[26:27], v[26:27], v[32:33], v[36:37]
	v_div_fixup_f64 v[32:33], v[26:27], v[24:25], 1.0
	ds_read_b128 v[24:27], v23
	v_fma_f64 v[28:29], v[28:29], 0, -v[30:31]
	v_mul_f64 v[34:35], v[34:35], v[32:33]
	v_mul_f64 v[32:33], v[28:29], v[32:33]
	ds_read_b128 v[28:31], v23 offset:512
	s_waitcnt lgkmcnt(1)
	v_mul_f64 v[36:37], v[26:27], -v[8:9]
	v_fmac_f64_e32 v[36:37], v[6:7], v[24:25]
	v_mul_f64 v[6:7], v[6:7], v[26:27]
	v_fmac_f64_e32 v[6:7], v[8:9], v[24:25]
	s_waitcnt lgkmcnt(0)
	v_mul_f64 v[8:9], v[30:31], -v[16:17]
	v_fmac_f64_e32 v[8:9], v[14:15], v[28:29]
	v_mul_f64 v[14:15], v[14:15], v[30:31]
	v_fmac_f64_e32 v[14:15], v[16:17], v[28:29]
	v_add_f64 v[14:15], v[6:7], -v[14:15]
	v_add_f64 v[8:9], v[36:37], -v[8:9]
	v_mul_f64 v[6:7], v[32:33], -v[14:15]
	v_fmac_f64_e32 v[6:7], v[8:9], v[34:35]
	v_mul_f64 v[8:9], v[32:33], v[8:9]
	v_fmac_f64_e32 v[8:9], v[14:15], v[34:35]
	ds_write_b128 v22, v[6:9] offset:23552
	v_mul_f64 v[6:7], v[4:5], -v[30:31]
	v_mul_f64 v[4:5], v[4:5], v[28:29]
	v_fmac_f64_e32 v[6:7], v[28:29], v[2:3]
	v_fmac_f64_e32 v[4:5], v[30:31], v[2:3]
	v_mul_f64 v[2:3], v[12:13], -v[26:27]
	v_mul_f64 v[8:9], v[12:13], v[24:25]
	v_fmac_f64_e32 v[2:3], v[24:25], v[10:11]
	v_fmac_f64_e32 v[8:9], v[26:27], v[10:11]
	v_add_f64 v[6:7], v[6:7], -v[2:3]
	v_add_f64 v[8:9], v[4:5], -v[8:9]
	v_mul_f64 v[2:3], v[32:33], -v[8:9]
	v_mul_f64 v[4:5], v[32:33], v[6:7]
	v_fmac_f64_e32 v[2:3], v[6:7], v[34:35]
	v_fmac_f64_e32 v[4:5], v[8:9], v[34:35]
	ds_write_b128 v22, v[2:5] offset:24064
.LBB70_28:
	s_or_b64 exec, exec, s[4:5]
	s_waitcnt lgkmcnt(0)
	s_barrier
	s_and_saveexec_b64 s[4:5], s[2:3]
	s_cbranch_execz .LBB70_30
; %bb.29:
	ds_read_b128 v[2:5], v22 offset:23552
	s_waitcnt lgkmcnt(0)
	ds_write_b128 v1, v[2:5] offset:12272
.LBB70_30:
	s_or_b64 exec, exec, s[4:5]
	s_waitcnt lgkmcnt(0)
	s_barrier
	s_and_saveexec_b64 s[4:5], s[2:3]
	s_cbranch_execz .LBB70_36
; %bb.31:
	v_lshlrev_b32_e32 v1, 2, v0
	v_mov_b32_e32 v2, 0x4000
	v_cmp_ne_u32_e32 vcc, 0, v0
	v_lshl_or_b32 v6, v0, 6, v2
	v_lshlrev_b32_e32 v1, 4, v1
                                        ; implicit-def: $vgpr4_vgpr5
	s_and_saveexec_b64 s[2:3], vcc
	s_xor_b64 s[2:3], exec, s[2:3]
	s_cbranch_execz .LBB70_33
; %bb.32:
	ds_read_b128 v[2:5], v1 offset:12272
	ds_read_b128 v[8:11], v1 offset:16
	;; [unrolled: 1-line block ×6, first 2 shown]
	s_waitcnt lgkmcnt(4)
	v_mul_f64 v[6:7], v[4:5], -v[10:11]
	v_mul_f64 v[4:5], v[4:5], v[8:9]
	v_fmac_f64_e32 v[4:5], v[10:11], v[2:3]
	s_waitcnt lgkmcnt(1)
	v_mul_f64 v[10:11], v[30:31], v[30:31]
	v_fmac_f64_e32 v[6:7], v[8:9], v[2:3]
	v_fmac_f64_e32 v[10:11], v[28:29], v[28:29]
	v_add_f64 v[2:3], v[12:13], -v[6:7]
	v_div_scale_f64 v[12:13], s[6:7], v[10:11], v[10:11], 1.0
	v_add_f64 v[4:5], v[14:15], -v[4:5]
	v_rcp_f64_e32 v[14:15], v[12:13]
	s_waitcnt lgkmcnt(0)
	v_mul_f64 v[6:7], v[34:35], -v[26:27]
	v_fmac_f64_e32 v[6:7], v[24:25], v[32:33]
	v_add_f64 v[6:7], v[2:3], -v[6:7]
	v_fma_f64 v[2:3], -v[12:13], v[14:15], 1.0
	v_fmac_f64_e32 v[14:15], v[14:15], v[2:3]
	v_mul_f64 v[8:9], v[34:35], v[24:25]
	v_fma_f64 v[2:3], -v[12:13], v[14:15], 1.0
	v_fmac_f64_e32 v[8:9], v[26:27], v[32:33]
	v_fmac_f64_e32 v[14:15], v[14:15], v[2:3]
	v_div_scale_f64 v[2:3], vcc, 1.0, v[10:11], 1.0
	v_add_f64 v[4:5], v[4:5], -v[8:9]
	v_mul_f64 v[8:9], v[2:3], v[14:15]
	v_fma_f64 v[2:3], -v[12:13], v[8:9], v[2:3]
	s_nop 0
	v_div_fmas_f64 v[2:3], v[2:3], v[14:15], v[8:9]
	v_div_fixup_f64 v[8:9], v[2:3], v[10:11], 1.0
	v_mul_f64 v[2:3], v[30:31], v[4:5]
	v_fmac_f64_e32 v[2:3], v[6:7], v[28:29]
	v_mul_f64 v[6:7], v[30:31], -v[6:7]
	v_fmac_f64_e32 v[6:7], v[4:5], v[28:29]
	v_mul_f64 v[2:3], v[2:3], v[8:9]
	v_mul_f64 v[4:5], v[8:9], v[6:7]
                                        ; implicit-def: $vgpr6
.LBB70_33:
	s_andn2_saveexec_b64 s[2:3], s[2:3]
	s_cbranch_execz .LBB70_35
; %bb.34:
	ds_read_b128 v[2:5], v1 offset:12336
	ds_read_b128 v[8:11], v1 offset:8208
	;; [unrolled: 1-line block ×4, first 2 shown]
	s_waitcnt lgkmcnt(2)
	v_mul_f64 v[6:7], v[4:5], -v[10:11]
	v_mul_f64 v[4:5], v[4:5], v[8:9]
	v_fmac_f64_e32 v[6:7], v[8:9], v[2:3]
	s_waitcnt lgkmcnt(1)
	v_mul_f64 v[8:9], v[14:15], v[14:15]
	v_fmac_f64_e32 v[8:9], v[12:13], v[12:13]
	v_div_scale_f64 v[16:17], s[6:7], v[8:9], v[8:9], 1.0
	v_rcp_f64_e32 v[28:29], v[16:17]
	v_fmac_f64_e32 v[4:5], v[10:11], v[2:3]
	s_waitcnt lgkmcnt(0)
	v_add_f64 v[4:5], v[26:27], -v[4:5]
	v_add_f64 v[6:7], v[24:25], -v[6:7]
	v_fma_f64 v[2:3], -v[16:17], v[28:29], 1.0
	v_fmac_f64_e32 v[28:29], v[28:29], v[2:3]
	v_fma_f64 v[2:3], -v[16:17], v[28:29], 1.0
	v_fmac_f64_e32 v[28:29], v[28:29], v[2:3]
	v_div_scale_f64 v[2:3], vcc, 1.0, v[8:9], 1.0
	v_mul_f64 v[10:11], v[2:3], v[28:29]
	v_fma_f64 v[2:3], -v[16:17], v[10:11], v[2:3]
	s_nop 1
	v_div_fmas_f64 v[2:3], v[2:3], v[28:29], v[10:11]
	v_div_fixup_f64 v[8:9], v[2:3], v[8:9], 1.0
	v_mul_f64 v[2:3], v[4:5], v[14:15]
	v_fmac_f64_e32 v[2:3], v[6:7], v[12:13]
	v_mul_f64 v[6:7], v[14:15], -v[6:7]
	v_fmac_f64_e32 v[6:7], v[4:5], v[12:13]
	v_mul_f64 v[2:3], v[2:3], v[8:9]
	v_mul_f64 v[4:5], v[6:7], v[8:9]
.LBB70_35:
	s_or_b64 exec, exec, s[2:3]
	ds_write_b128 v1, v[2:5] offset:12304
.LBB70_36:
	s_or_b64 exec, exec, s[4:5]
	s_waitcnt lgkmcnt(0)
	s_barrier
	s_and_saveexec_b64 s[2:3], s[0:1]
	s_cbranch_execz .LBB70_42
; %bb.37:
	v_lshlrev_b32_e32 v1, 1, v0
	v_mov_b32_e32 v2, 0x4000
	v_cmp_ne_u32_e32 vcc, 0, v0
	v_lshl_or_b32 v5, v0, 5, v2
	v_lshlrev_b32_e32 v4, 4, v1
                                        ; implicit-def: $vgpr2_vgpr3
	s_and_saveexec_b64 s[0:1], vcc
	s_xor_b64 s[0:1], exec, s[0:1]
	s_cbranch_execz .LBB70_39
; %bb.38:
	ds_read_b128 v[0:3], v4 offset:12272
	ds_read_b128 v[6:9], v4
	ds_read_b128 v[10:13], v5
	ds_read_b128 v[14:17], v4 offset:8192
	ds_read_b128 v[24:27], v4 offset:4096
	;; [unrolled: 1-line block ×3, first 2 shown]
	s_waitcnt lgkmcnt(4)
	v_mul_f64 v[32:33], v[2:3], -v[8:9]
	v_fmac_f64_e32 v[32:33], v[6:7], v[0:1]
	v_mul_f64 v[2:3], v[2:3], v[6:7]
	v_fmac_f64_e32 v[2:3], v[8:9], v[0:1]
	s_waitcnt lgkmcnt(3)
	v_add_f64 v[0:1], v[10:11], -v[32:33]
	s_waitcnt lgkmcnt(1)
	v_mul_f64 v[10:11], v[26:27], v[26:27]
	v_fmac_f64_e32 v[10:11], v[24:25], v[24:25]
	v_add_f64 v[2:3], v[12:13], -v[2:3]
	s_waitcnt lgkmcnt(0)
	v_mul_f64 v[6:7], v[30:31], -v[16:17]
	v_div_scale_f64 v[12:13], s[4:5], v[10:11], v[10:11], 1.0
	v_fmac_f64_e32 v[6:7], v[14:15], v[28:29]
	v_mul_f64 v[8:9], v[30:31], v[14:15]
	v_rcp_f64_e32 v[14:15], v[12:13]
	v_add_f64 v[6:7], v[0:1], -v[6:7]
	v_fmac_f64_e32 v[8:9], v[16:17], v[28:29]
	v_add_f64 v[2:3], v[2:3], -v[8:9]
	v_fma_f64 v[0:1], -v[12:13], v[14:15], 1.0
	v_fmac_f64_e32 v[14:15], v[14:15], v[0:1]
	v_fma_f64 v[0:1], -v[12:13], v[14:15], 1.0
	v_fmac_f64_e32 v[14:15], v[14:15], v[0:1]
	v_div_scale_f64 v[0:1], vcc, 1.0, v[10:11], 1.0
	v_mul_f64 v[8:9], v[0:1], v[14:15]
	v_fma_f64 v[0:1], -v[12:13], v[8:9], v[0:1]
                                        ; implicit-def: $vgpr5
	s_nop 1
	v_div_fmas_f64 v[0:1], v[0:1], v[14:15], v[8:9]
	v_div_fixup_f64 v[8:9], v[0:1], v[10:11], 1.0
	v_mul_f64 v[0:1], v[26:27], v[2:3]
	v_fmac_f64_e32 v[0:1], v[6:7], v[24:25]
	v_mul_f64 v[6:7], v[26:27], -v[6:7]
	v_fmac_f64_e32 v[6:7], v[2:3], v[24:25]
	v_mul_f64 v[0:1], v[0:1], v[8:9]
	v_mul_f64 v[2:3], v[8:9], v[6:7]
.LBB70_39:
	s_andn2_saveexec_b64 s[0:1], s[0:1]
	s_cbranch_execz .LBB70_41
; %bb.40:
	ds_read_b128 v[0:3], v4 offset:12304
	ds_read_b128 v[6:9], v4 offset:8192
	;; [unrolled: 1-line block ×3, first 2 shown]
	ds_read_b128 v[14:17], v5
	s_waitcnt lgkmcnt(2)
	v_mul_f64 v[24:25], v[2:3], -v[8:9]
	v_mul_f64 v[2:3], v[2:3], v[6:7]
	v_fmac_f64_e32 v[24:25], v[6:7], v[0:1]
	s_waitcnt lgkmcnt(1)
	v_mul_f64 v[6:7], v[12:13], v[12:13]
	v_fmac_f64_e32 v[6:7], v[10:11], v[10:11]
	v_div_scale_f64 v[26:27], s[4:5], v[6:7], v[6:7], 1.0
	v_rcp_f64_e32 v[28:29], v[26:27]
	v_fmac_f64_e32 v[2:3], v[8:9], v[0:1]
	s_waitcnt lgkmcnt(0)
	v_add_f64 v[8:9], v[14:15], -v[24:25]
	v_add_f64 v[2:3], v[16:17], -v[2:3]
	v_fma_f64 v[0:1], -v[26:27], v[28:29], 1.0
	v_fmac_f64_e32 v[28:29], v[28:29], v[0:1]
	v_fma_f64 v[0:1], -v[26:27], v[28:29], 1.0
	v_fmac_f64_e32 v[28:29], v[28:29], v[0:1]
	v_div_scale_f64 v[0:1], vcc, 1.0, v[6:7], 1.0
	v_mul_f64 v[14:15], v[0:1], v[28:29]
	v_fma_f64 v[0:1], -v[26:27], v[14:15], v[0:1]
	s_nop 1
	v_div_fmas_f64 v[0:1], v[0:1], v[28:29], v[14:15]
	v_div_fixup_f64 v[6:7], v[0:1], v[6:7], 1.0
	v_mul_f64 v[0:1], v[2:3], v[12:13]
	v_fmac_f64_e32 v[0:1], v[8:9], v[10:11]
	v_mul_f64 v[8:9], v[12:13], -v[8:9]
	v_fmac_f64_e32 v[8:9], v[2:3], v[10:11]
	v_mul_f64 v[0:1], v[0:1], v[6:7]
	v_mul_f64 v[2:3], v[8:9], v[6:7]
.LBB70_41:
	s_or_b64 exec, exec, s[0:1]
	ds_write_b128 v4, v[0:3] offset:12288
.LBB70_42:
	s_or_b64 exec, exec, s[2:3]
	v_or_b32_e32 v0, 0x3000, v22
	v_or_b32_e32 v4, 0x3800, v22
	s_waitcnt lgkmcnt(0)
	s_barrier
	ds_read2_b64 v[0:3], v0 offset1:1
	ds_read2_b64 v[4:7], v4 offset1:1
	s_waitcnt lgkmcnt(1)
	global_store_dwordx4 v[18:19], v[0:3], off
	s_waitcnt lgkmcnt(0)
	global_store_dwordx4 v[20:21], v[4:7], off
	s_endpgm
	.section	.rodata,"a",@progbits
	.p2align	6, 0x0
	.amdhsa_kernel _ZN9rocsparseL51gtsv_nopivot_strided_batch_crpcr_pow2_shared_kernelILj128ELj64E21rocsparse_complex_numIdEEEviiiPKT1_S5_S5_PS3_
		.amdhsa_group_segment_fixed_size 25600
		.amdhsa_private_segment_fixed_size 0
		.amdhsa_kernarg_size 48
		.amdhsa_user_sgpr_count 2
		.amdhsa_user_sgpr_dispatch_ptr 0
		.amdhsa_user_sgpr_queue_ptr 0
		.amdhsa_user_sgpr_kernarg_segment_ptr 1
		.amdhsa_user_sgpr_dispatch_id 0
		.amdhsa_user_sgpr_kernarg_preload_length 0
		.amdhsa_user_sgpr_kernarg_preload_offset 0
		.amdhsa_user_sgpr_private_segment_size 0
		.amdhsa_uses_dynamic_stack 0
		.amdhsa_enable_private_segment 0
		.amdhsa_system_sgpr_workgroup_id_x 1
		.amdhsa_system_sgpr_workgroup_id_y 0
		.amdhsa_system_sgpr_workgroup_id_z 0
		.amdhsa_system_sgpr_workgroup_info 0
		.amdhsa_system_vgpr_workitem_id 0
		.amdhsa_next_free_vgpr 129
		.amdhsa_next_free_sgpr 96
		.amdhsa_accum_offset 52
		.amdhsa_reserve_vcc 1
		.amdhsa_float_round_mode_32 0
		.amdhsa_float_round_mode_16_64 0
		.amdhsa_float_denorm_mode_32 3
		.amdhsa_float_denorm_mode_16_64 3
		.amdhsa_dx10_clamp 1
		.amdhsa_ieee_mode 1
		.amdhsa_fp16_overflow 0
		.amdhsa_tg_split 0
		.amdhsa_exception_fp_ieee_invalid_op 0
		.amdhsa_exception_fp_denorm_src 0
		.amdhsa_exception_fp_ieee_div_zero 0
		.amdhsa_exception_fp_ieee_overflow 0
		.amdhsa_exception_fp_ieee_underflow 0
		.amdhsa_exception_fp_ieee_inexact 0
		.amdhsa_exception_int_div_zero 0
	.end_amdhsa_kernel
	.section	.text._ZN9rocsparseL51gtsv_nopivot_strided_batch_crpcr_pow2_shared_kernelILj128ELj64E21rocsparse_complex_numIdEEEviiiPKT1_S5_S5_PS3_,"axG",@progbits,_ZN9rocsparseL51gtsv_nopivot_strided_batch_crpcr_pow2_shared_kernelILj128ELj64E21rocsparse_complex_numIdEEEviiiPKT1_S5_S5_PS3_,comdat
.Lfunc_end70:
	.size	_ZN9rocsparseL51gtsv_nopivot_strided_batch_crpcr_pow2_shared_kernelILj128ELj64E21rocsparse_complex_numIdEEEviiiPKT1_S5_S5_PS3_, .Lfunc_end70-_ZN9rocsparseL51gtsv_nopivot_strided_batch_crpcr_pow2_shared_kernelILj128ELj64E21rocsparse_complex_numIdEEEviiiPKT1_S5_S5_PS3_
                                        ; -- End function
	.set _ZN9rocsparseL51gtsv_nopivot_strided_batch_crpcr_pow2_shared_kernelILj128ELj64E21rocsparse_complex_numIdEEEviiiPKT1_S5_S5_PS3_.num_vgpr, 49
	.set _ZN9rocsparseL51gtsv_nopivot_strided_batch_crpcr_pow2_shared_kernelILj128ELj64E21rocsparse_complex_numIdEEEviiiPKT1_S5_S5_PS3_.num_agpr, 0
	.set _ZN9rocsparseL51gtsv_nopivot_strided_batch_crpcr_pow2_shared_kernelILj128ELj64E21rocsparse_complex_numIdEEEviiiPKT1_S5_S5_PS3_.numbered_sgpr, 12
	.set _ZN9rocsparseL51gtsv_nopivot_strided_batch_crpcr_pow2_shared_kernelILj128ELj64E21rocsparse_complex_numIdEEEviiiPKT1_S5_S5_PS3_.num_named_barrier, 0
	.set _ZN9rocsparseL51gtsv_nopivot_strided_batch_crpcr_pow2_shared_kernelILj128ELj64E21rocsparse_complex_numIdEEEviiiPKT1_S5_S5_PS3_.private_seg_size, 0
	.set _ZN9rocsparseL51gtsv_nopivot_strided_batch_crpcr_pow2_shared_kernelILj128ELj64E21rocsparse_complex_numIdEEEviiiPKT1_S5_S5_PS3_.uses_vcc, 1
	.set _ZN9rocsparseL51gtsv_nopivot_strided_batch_crpcr_pow2_shared_kernelILj128ELj64E21rocsparse_complex_numIdEEEviiiPKT1_S5_S5_PS3_.uses_flat_scratch, 0
	.set _ZN9rocsparseL51gtsv_nopivot_strided_batch_crpcr_pow2_shared_kernelILj128ELj64E21rocsparse_complex_numIdEEEviiiPKT1_S5_S5_PS3_.has_dyn_sized_stack, 0
	.set _ZN9rocsparseL51gtsv_nopivot_strided_batch_crpcr_pow2_shared_kernelILj128ELj64E21rocsparse_complex_numIdEEEviiiPKT1_S5_S5_PS3_.has_recursion, 0
	.set _ZN9rocsparseL51gtsv_nopivot_strided_batch_crpcr_pow2_shared_kernelILj128ELj64E21rocsparse_complex_numIdEEEviiiPKT1_S5_S5_PS3_.has_indirect_call, 0
	.section	.AMDGPU.csdata,"",@progbits
; Kernel info:
; codeLenInByte = 7128
; TotalNumSgprs: 18
; NumVgprs: 49
; NumAgprs: 0
; TotalNumVgprs: 49
; ScratchSize: 0
; MemoryBound: 0
; FloatMode: 240
; IeeeMode: 1
; LDSByteSize: 25600 bytes/workgroup (compile time only)
; SGPRBlocks: 12
; VGPRBlocks: 16
; NumSGPRsForWavesPerEU: 102
; NumVGPRsForWavesPerEU: 129
; AccumOffset: 52
; Occupancy: 3
; WaveLimiterHint : 0
; COMPUTE_PGM_RSRC2:SCRATCH_EN: 0
; COMPUTE_PGM_RSRC2:USER_SGPR: 2
; COMPUTE_PGM_RSRC2:TRAP_HANDLER: 0
; COMPUTE_PGM_RSRC2:TGID_X_EN: 1
; COMPUTE_PGM_RSRC2:TGID_Y_EN: 0
; COMPUTE_PGM_RSRC2:TGID_Z_EN: 0
; COMPUTE_PGM_RSRC2:TIDIG_COMP_CNT: 0
; COMPUTE_PGM_RSRC3_GFX90A:ACCUM_OFFSET: 12
; COMPUTE_PGM_RSRC3_GFX90A:TG_SPLIT: 0
	.section	.text._ZN9rocsparseL51gtsv_nopivot_strided_batch_crpcr_pow2_shared_kernelILj256ELj64E21rocsparse_complex_numIdEEEviiiPKT1_S5_S5_PS3_,"axG",@progbits,_ZN9rocsparseL51gtsv_nopivot_strided_batch_crpcr_pow2_shared_kernelILj256ELj64E21rocsparse_complex_numIdEEEviiiPKT1_S5_S5_PS3_,comdat
	.globl	_ZN9rocsparseL51gtsv_nopivot_strided_batch_crpcr_pow2_shared_kernelILj256ELj64E21rocsparse_complex_numIdEEEviiiPKT1_S5_S5_PS3_ ; -- Begin function _ZN9rocsparseL51gtsv_nopivot_strided_batch_crpcr_pow2_shared_kernelILj256ELj64E21rocsparse_complex_numIdEEEviiiPKT1_S5_S5_PS3_
	.p2align	8
	.type	_ZN9rocsparseL51gtsv_nopivot_strided_batch_crpcr_pow2_shared_kernelILj256ELj64E21rocsparse_complex_numIdEEEviiiPKT1_S5_S5_PS3_,@function
_ZN9rocsparseL51gtsv_nopivot_strided_batch_crpcr_pow2_shared_kernelILj256ELj64E21rocsparse_complex_numIdEEEviiiPKT1_S5_S5_PS3_: ; @_ZN9rocsparseL51gtsv_nopivot_strided_batch_crpcr_pow2_shared_kernelILj256ELj64E21rocsparse_complex_numIdEEEviiiPKT1_S5_S5_PS3_
; %bb.0:
	s_load_dword s3, s[0:1], 0x8
	s_load_dwordx8 s[4:11], s[0:1], 0x10
	v_mov_b32_e32 v5, 0
	s_movk_i32 s0, 0x100
	v_lshlrev_b32_e32 v22, 4, v0
	s_waitcnt lgkmcnt(0)
	s_mul_i32 s3, s3, s2
	v_add_u32_e32 v2, s3, v0
	v_ashrrev_i32_e32 v3, 31, v2
	v_add_u32_e32 v4, 0x100, v2
	v_lshlrev_b64 v[2:3], 4, v[2:3]
	v_lshlrev_b64 v[4:5], 4, v[4:5]
	v_lshl_add_u64 v[14:15], s[4:5], 0, v[2:3]
	v_lshl_add_u64 v[16:17], s[4:5], 0, v[4:5]
	;; [unrolled: 1-line block ×3, first 2 shown]
	global_load_dwordx4 v[6:9], v[14:15], off
	global_load_dwordx4 v[10:13], v[16:17], off
	v_lshl_add_u64 v[20:21], s[6:7], 0, v[4:5]
	global_load_dwordx4 v[14:17], v[18:19], off
	global_load_dwordx4 v[24:27], v[20:21], off
	v_lshl_add_u64 v[18:19], s[8:9], 0, v[2:3]
	v_lshl_add_u64 v[20:21], s[8:9], 0, v[4:5]
	global_load_dwordx4 v[28:31], v[18:19], off
	global_load_dwordx4 v[32:35], v[20:21], off
	v_lshl_add_u64 v[18:19], s[10:11], 0, v[2:3]
	v_lshl_add_u64 v[20:21], s[10:11], 0, v[4:5]
	global_load_dwordx4 v[36:39], v[18:19], off
	global_load_dwordx4 v[40:43], v[20:21], off
	v_add_u32_e32 v4, 1, v0
	v_cmp_gt_u32_e64 s[0:1], s0, v0
	v_or_b32_e32 v1, 0x1000, v22
	v_or_b32_e32 v2, 0x2000, v22
	;; [unrolled: 1-line block ×7, first 2 shown]
	s_waitcnt vmcnt(7)
	ds_write2_b64 v22, v[6:7], v[8:9] offset1:1
	s_waitcnt vmcnt(6)
	ds_write2_b64 v1, v[10:11], v[12:13] offset1:1
	;; [unrolled: 2-line block ×8, first 2 shown]
	s_waitcnt lgkmcnt(0)
	s_barrier
	s_and_saveexec_b64 s[2:3], s[0:1]
	s_cbranch_execz .LBB71_2
; %bb.1:
	v_lshlrev_b32_e32 v1, 5, v4
	ds_read_b128 v[6:9], v1 offset:8160
	ds_read_b128 v[10:13], v1 offset:8176
	v_lshlrev_b32_e32 v2, 1, v4
	v_min_u32_e32 v5, 0x1ff, v2
	v_add_u32_e32 v23, -16, v1
	s_waitcnt lgkmcnt(1)
	v_mul_f64 v[2:3], v[8:9], v[8:9]
	v_fmac_f64_e32 v[2:3], v[6:7], v[6:7]
	v_div_scale_f64 v[24:25], s[4:5], v[2:3], v[2:3], 1.0
	v_rcp_f64_e32 v[26:27], v[24:25]
	ds_read_b128 v[14:17], v23
	v_lshlrev_b32_e32 v5, 4, v5
	v_subrev_u32_e32 v32, 32, v1
	v_fma_f64 v[28:29], -v[24:25], v[26:27], 1.0
	v_fmac_f64_e32 v[26:27], v[26:27], v[28:29]
	v_fma_f64 v[28:29], -v[24:25], v[26:27], 1.0
	v_fmac_f64_e32 v[26:27], v[26:27], v[28:29]
	v_div_scale_f64 v[28:29], vcc, 1.0, v[2:3], 1.0
	v_mul_f64 v[30:31], v[28:29], v[26:27]
	v_fma_f64 v[24:25], -v[24:25], v[30:31], v[28:29]
	s_nop 1
	v_div_fmas_f64 v[24:25], v[24:25], v[26:27], v[30:31]
	ds_read_b128 v[28:31], v5 offset:8192
	v_div_fixup_f64 v[2:3], v[24:25], v[2:3], 1.0
	ds_read_b128 v[24:27], v32
	s_waitcnt lgkmcnt(2)
	v_mul_f64 v[32:33], v[8:9], v[16:17]
	v_fmac_f64_e32 v[32:33], v[14:15], v[6:7]
	v_mul_f64 v[36:37], v[2:3], v[32:33]
	v_mul_f64 v[8:9], v[8:9], -v[14:15]
	ds_read_b128 v[32:35], v5 offset:16384
	s_waitcnt lgkmcnt(2)
	v_mul_f64 v[14:15], v[30:31], v[30:31]
	v_fmac_f64_e32 v[14:15], v[28:29], v[28:29]
	v_div_scale_f64 v[38:39], s[4:5], v[14:15], v[14:15], 1.0
	v_rcp_f64_e32 v[40:41], v[38:39]
	v_fmac_f64_e32 v[8:9], v[16:17], v[6:7]
	v_mul_f64 v[2:3], v[2:3], v[8:9]
	ds_read_b128 v[6:9], v1 offset:16368
	v_fma_f64 v[16:17], -v[38:39], v[40:41], 1.0
	v_fmac_f64_e32 v[40:41], v[40:41], v[16:17]
	v_fma_f64 v[16:17], -v[38:39], v[40:41], 1.0
	v_fmac_f64_e32 v[40:41], v[40:41], v[16:17]
	v_div_scale_f64 v[16:17], vcc, 1.0, v[14:15], 1.0
	v_mul_f64 v[42:43], v[16:17], v[40:41]
	v_fma_f64 v[16:17], -v[38:39], v[42:43], v[16:17]
	s_nop 1
	v_div_fmas_f64 v[16:17], v[16:17], v[40:41], v[42:43]
	v_div_fixup_f64 v[38:39], v[16:17], v[14:15], 1.0
	ds_read_b128 v[14:17], v1 offset:16352
	s_waitcnt lgkmcnt(1)
	v_mul_f64 v[40:41], v[30:31], v[8:9]
	v_fmac_f64_e32 v[40:41], v[6:7], v[28:29]
	v_mul_f64 v[6:7], v[30:31], -v[6:7]
	v_fmac_f64_e32 v[6:7], v[8:9], v[28:29]
	v_mul_f64 v[28:29], v[38:39], v[6:7]
	ds_read_b128 v[6:9], v5
	s_waitcnt lgkmcnt(1)
	v_mul_f64 v[30:31], v[2:3], -v[16:17]
	v_fmac_f64_e32 v[30:31], v[14:15], v[36:37]
	v_mul_f64 v[14:15], v[2:3], v[14:15]
	v_fmac_f64_e32 v[14:15], v[16:17], v[36:37]
	v_mul_f64 v[40:41], v[38:39], v[40:41]
	v_add_f64 v[16:17], v[10:11], -v[30:31]
	v_add_f64 v[30:31], v[12:13], -v[14:15]
	ds_read_b128 v[10:13], v5 offset:32768
	s_waitcnt lgkmcnt(1)
	v_mul_f64 v[14:15], v[28:29], -v[8:9]
	v_mul_f64 v[38:39], v[28:29], v[6:7]
	v_fmac_f64_e32 v[14:15], v[6:7], v[40:41]
	v_fmac_f64_e32 v[38:39], v[8:9], v[40:41]
	ds_read_b128 v[6:9], v1 offset:32736
	v_add_f64 v[14:15], v[16:17], -v[14:15]
	v_add_f64 v[16:17], v[30:31], -v[38:39]
	ds_write_b128 v1, v[14:17] offset:8176
	ds_read_b128 v[14:17], v1 offset:32752
	s_waitcnt lgkmcnt(2)
	v_mul_f64 v[30:31], v[2:3], -v[8:9]
	v_fmac_f64_e32 v[30:31], v[6:7], v[36:37]
	v_mul_f64 v[6:7], v[2:3], v[6:7]
	v_fmac_f64_e32 v[6:7], v[8:9], v[36:37]
	s_waitcnt lgkmcnt(0)
	v_add_f64 v[8:9], v[14:15], -v[30:31]
	v_add_f64 v[14:15], v[16:17], -v[6:7]
	v_mul_f64 v[6:7], v[28:29], -v[12:13]
	v_fmac_f64_e32 v[6:7], v[10:11], v[40:41]
	v_mul_f64 v[10:11], v[28:29], v[10:11]
	v_fmac_f64_e32 v[10:11], v[12:13], v[40:41]
	v_add_f64 v[6:7], v[8:9], -v[6:7]
	v_add_f64 v[8:9], v[14:15], -v[10:11]
	ds_write_b128 v1, v[6:9] offset:32752
	v_mul_f64 v[6:7], v[2:3], v[26:27]
	v_mul_f64 v[2:3], v[2:3], -v[24:25]
	v_fma_f64 v[6:7], -v[24:25], v[36:37], v[6:7]
	v_fma_f64 v[8:9], -v[26:27], v[36:37], v[2:3]
	v_mul_f64 v[2:3], v[28:29], v[34:35]
	ds_write_b128 v23, v[6:9]
	v_fma_f64 v[6:7], -v[32:33], v[40:41], v[2:3]
	v_mul_f64 v[2:3], v[28:29], -v[32:33]
	v_fma_f64 v[8:9], -v[34:35], v[40:41], v[2:3]
	ds_write_b128 v1, v[6:9] offset:16368
.LBB71_2:
	s_or_b64 exec, exec, s[2:3]
	s_movk_i32 s2, 0x80
	v_cmp_gt_u32_e64 s[2:3], s2, v0
	s_waitcnt lgkmcnt(0)
	s_barrier
	s_and_saveexec_b64 s[4:5], s[2:3]
	s_cbranch_execz .LBB71_4
; %bb.3:
	v_lshlrev_b32_e32 v1, 6, v4
	ds_read_b128 v[6:9], v1 offset:8144
	ds_read_b128 v[10:13], v1 offset:8176
	v_lshl_or_b32 v2, v4, 2, 1
	v_min_u32_e32 v5, 0x1ff, v2
	v_add_u32_e32 v23, -16, v1
	s_waitcnt lgkmcnt(1)
	v_mul_f64 v[2:3], v[8:9], v[8:9]
	v_fmac_f64_e32 v[2:3], v[6:7], v[6:7]
	v_div_scale_f64 v[24:25], s[6:7], v[2:3], v[2:3], 1.0
	v_rcp_f64_e32 v[26:27], v[24:25]
	ds_read_b128 v[14:17], v23
	v_lshlrev_b32_e32 v5, 4, v5
	v_subrev_u32_e32 v32, 48, v1
	v_fma_f64 v[28:29], -v[24:25], v[26:27], 1.0
	v_fmac_f64_e32 v[26:27], v[26:27], v[28:29]
	v_fma_f64 v[28:29], -v[24:25], v[26:27], 1.0
	v_fmac_f64_e32 v[26:27], v[26:27], v[28:29]
	v_div_scale_f64 v[28:29], vcc, 1.0, v[2:3], 1.0
	v_mul_f64 v[30:31], v[28:29], v[26:27]
	v_fma_f64 v[24:25], -v[24:25], v[30:31], v[28:29]
	s_nop 1
	v_div_fmas_f64 v[24:25], v[24:25], v[26:27], v[30:31]
	ds_read_b128 v[28:31], v5 offset:8192
	v_div_fixup_f64 v[2:3], v[24:25], v[2:3], 1.0
	ds_read_b128 v[24:27], v32
	s_waitcnt lgkmcnt(2)
	v_mul_f64 v[32:33], v[8:9], v[16:17]
	v_fmac_f64_e32 v[32:33], v[14:15], v[6:7]
	v_mul_f64 v[36:37], v[2:3], v[32:33]
	v_mul_f64 v[8:9], v[8:9], -v[14:15]
	ds_read_b128 v[32:35], v5 offset:16384
	s_waitcnt lgkmcnt(2)
	v_mul_f64 v[14:15], v[30:31], v[30:31]
	v_fmac_f64_e32 v[14:15], v[28:29], v[28:29]
	v_div_scale_f64 v[38:39], s[6:7], v[14:15], v[14:15], 1.0
	v_rcp_f64_e32 v[40:41], v[38:39]
	v_fmac_f64_e32 v[8:9], v[16:17], v[6:7]
	v_mul_f64 v[2:3], v[2:3], v[8:9]
	ds_read_b128 v[6:9], v1 offset:16368
	v_fma_f64 v[16:17], -v[38:39], v[40:41], 1.0
	v_fmac_f64_e32 v[40:41], v[40:41], v[16:17]
	v_fma_f64 v[16:17], -v[38:39], v[40:41], 1.0
	v_fmac_f64_e32 v[40:41], v[40:41], v[16:17]
	v_div_scale_f64 v[16:17], vcc, 1.0, v[14:15], 1.0
	v_mul_f64 v[42:43], v[16:17], v[40:41]
	v_fma_f64 v[16:17], -v[38:39], v[42:43], v[16:17]
	s_nop 1
	v_div_fmas_f64 v[16:17], v[16:17], v[40:41], v[42:43]
	v_div_fixup_f64 v[38:39], v[16:17], v[14:15], 1.0
	ds_read_b128 v[14:17], v1 offset:16336
	s_waitcnt lgkmcnt(1)
	v_mul_f64 v[40:41], v[30:31], v[8:9]
	v_fmac_f64_e32 v[40:41], v[6:7], v[28:29]
	v_mul_f64 v[6:7], v[30:31], -v[6:7]
	v_fmac_f64_e32 v[6:7], v[8:9], v[28:29]
	v_mul_f64 v[28:29], v[38:39], v[6:7]
	ds_read_b128 v[6:9], v5
	s_waitcnt lgkmcnt(1)
	v_mul_f64 v[30:31], v[2:3], -v[16:17]
	v_fmac_f64_e32 v[30:31], v[14:15], v[36:37]
	v_mul_f64 v[14:15], v[2:3], v[14:15]
	v_fmac_f64_e32 v[14:15], v[16:17], v[36:37]
	v_mul_f64 v[40:41], v[38:39], v[40:41]
	v_add_f64 v[16:17], v[10:11], -v[30:31]
	v_add_f64 v[30:31], v[12:13], -v[14:15]
	ds_read_b128 v[10:13], v5 offset:32768
	s_waitcnt lgkmcnt(1)
	v_mul_f64 v[14:15], v[28:29], -v[8:9]
	v_mul_f64 v[38:39], v[28:29], v[6:7]
	v_fmac_f64_e32 v[14:15], v[6:7], v[40:41]
	v_fmac_f64_e32 v[38:39], v[8:9], v[40:41]
	ds_read_b128 v[6:9], v1 offset:32720
	v_add_f64 v[14:15], v[16:17], -v[14:15]
	v_add_f64 v[16:17], v[30:31], -v[38:39]
	ds_write_b128 v1, v[14:17] offset:8176
	ds_read_b128 v[14:17], v1 offset:32752
	s_waitcnt lgkmcnt(2)
	v_mul_f64 v[30:31], v[2:3], -v[8:9]
	v_fmac_f64_e32 v[30:31], v[6:7], v[36:37]
	v_mul_f64 v[6:7], v[2:3], v[6:7]
	v_fmac_f64_e32 v[6:7], v[8:9], v[36:37]
	s_waitcnt lgkmcnt(0)
	v_add_f64 v[8:9], v[14:15], -v[30:31]
	v_add_f64 v[14:15], v[16:17], -v[6:7]
	v_mul_f64 v[6:7], v[28:29], -v[12:13]
	v_fmac_f64_e32 v[6:7], v[10:11], v[40:41]
	v_mul_f64 v[10:11], v[28:29], v[10:11]
	v_fmac_f64_e32 v[10:11], v[12:13], v[40:41]
	v_add_f64 v[6:7], v[8:9], -v[6:7]
	v_add_f64 v[8:9], v[14:15], -v[10:11]
	ds_write_b128 v1, v[6:9] offset:32752
	v_mul_f64 v[6:7], v[2:3], v[26:27]
	v_mul_f64 v[2:3], v[2:3], -v[24:25]
	v_fma_f64 v[6:7], -v[24:25], v[36:37], v[6:7]
	v_fma_f64 v[8:9], -v[26:27], v[36:37], v[2:3]
	v_mul_f64 v[2:3], v[28:29], v[34:35]
	ds_write_b128 v23, v[6:9]
	v_fma_f64 v[6:7], -v[32:33], v[40:41], v[2:3]
	v_mul_f64 v[2:3], v[28:29], -v[32:33]
	v_fma_f64 v[8:9], -v[34:35], v[40:41], v[2:3]
	ds_write_b128 v1, v[6:9] offset:16368
.LBB71_4:
	s_or_b64 exec, exec, s[4:5]
	v_cmp_gt_u32_e64 s[4:5], 64, v0
	v_lshlrev_b32_e32 v1, 7, v4
	s_waitcnt lgkmcnt(0)
	s_barrier
	s_and_saveexec_b64 s[6:7], s[4:5]
	s_cbranch_execz .LBB71_6
; %bb.5:
	ds_read_b128 v[6:9], v1 offset:8112
	ds_read_b128 v[10:13], v1 offset:8176
	v_lshl_or_b32 v5, v4, 3, 3
	v_add_u32_e32 v23, -16, v1
	v_min_u32_e32 v5, 0x1ff, v5
	s_waitcnt lgkmcnt(1)
	v_mul_f64 v[2:3], v[8:9], v[8:9]
	v_fmac_f64_e32 v[2:3], v[6:7], v[6:7]
	v_div_scale_f64 v[24:25], s[8:9], v[2:3], v[2:3], 1.0
	v_rcp_f64_e32 v[26:27], v[24:25]
	ds_read_b128 v[14:17], v23
	v_lshlrev_b32_e32 v5, 4, v5
	v_add_u32_e32 v32, 0xffffffb0, v1
	v_fma_f64 v[28:29], -v[24:25], v[26:27], 1.0
	v_fmac_f64_e32 v[26:27], v[26:27], v[28:29]
	v_fma_f64 v[28:29], -v[24:25], v[26:27], 1.0
	v_fmac_f64_e32 v[26:27], v[26:27], v[28:29]
	v_div_scale_f64 v[28:29], vcc, 1.0, v[2:3], 1.0
	v_mul_f64 v[30:31], v[28:29], v[26:27]
	v_fma_f64 v[24:25], -v[24:25], v[30:31], v[28:29]
	s_nop 1
	v_div_fmas_f64 v[24:25], v[24:25], v[26:27], v[30:31]
	ds_read_b128 v[28:31], v5 offset:8192
	v_div_fixup_f64 v[2:3], v[24:25], v[2:3], 1.0
	ds_read_b128 v[24:27], v32
	s_waitcnt lgkmcnt(2)
	v_mul_f64 v[32:33], v[8:9], v[16:17]
	v_fmac_f64_e32 v[32:33], v[14:15], v[6:7]
	v_mul_f64 v[36:37], v[2:3], v[32:33]
	v_mul_f64 v[8:9], v[8:9], -v[14:15]
	ds_read_b128 v[32:35], v5 offset:16384
	s_waitcnt lgkmcnt(2)
	v_mul_f64 v[14:15], v[30:31], v[30:31]
	v_fmac_f64_e32 v[14:15], v[28:29], v[28:29]
	v_div_scale_f64 v[38:39], s[8:9], v[14:15], v[14:15], 1.0
	v_rcp_f64_e32 v[40:41], v[38:39]
	v_fmac_f64_e32 v[8:9], v[16:17], v[6:7]
	v_mul_f64 v[2:3], v[2:3], v[8:9]
	ds_read_b128 v[6:9], v1 offset:16368
	v_fma_f64 v[16:17], -v[38:39], v[40:41], 1.0
	v_fmac_f64_e32 v[40:41], v[40:41], v[16:17]
	v_fma_f64 v[16:17], -v[38:39], v[40:41], 1.0
	v_fmac_f64_e32 v[40:41], v[40:41], v[16:17]
	v_div_scale_f64 v[16:17], vcc, 1.0, v[14:15], 1.0
	v_mul_f64 v[42:43], v[16:17], v[40:41]
	v_fma_f64 v[16:17], -v[38:39], v[42:43], v[16:17]
	s_nop 1
	v_div_fmas_f64 v[16:17], v[16:17], v[40:41], v[42:43]
	v_div_fixup_f64 v[38:39], v[16:17], v[14:15], 1.0
	ds_read_b128 v[14:17], v1 offset:16304
	s_waitcnt lgkmcnt(1)
	v_mul_f64 v[40:41], v[30:31], v[8:9]
	v_fmac_f64_e32 v[40:41], v[6:7], v[28:29]
	v_mul_f64 v[6:7], v[30:31], -v[6:7]
	v_fmac_f64_e32 v[6:7], v[8:9], v[28:29]
	v_mul_f64 v[28:29], v[38:39], v[6:7]
	ds_read_b128 v[6:9], v5
	s_waitcnt lgkmcnt(1)
	v_mul_f64 v[30:31], v[2:3], -v[16:17]
	v_fmac_f64_e32 v[30:31], v[14:15], v[36:37]
	v_mul_f64 v[14:15], v[2:3], v[14:15]
	v_fmac_f64_e32 v[14:15], v[16:17], v[36:37]
	v_mul_f64 v[40:41], v[38:39], v[40:41]
	v_add_f64 v[16:17], v[10:11], -v[30:31]
	v_add_f64 v[30:31], v[12:13], -v[14:15]
	ds_read_b128 v[10:13], v5 offset:32768
	s_waitcnt lgkmcnt(1)
	v_mul_f64 v[14:15], v[28:29], -v[8:9]
	v_mul_f64 v[38:39], v[28:29], v[6:7]
	v_fmac_f64_e32 v[14:15], v[6:7], v[40:41]
	v_fmac_f64_e32 v[38:39], v[8:9], v[40:41]
	ds_read_b128 v[6:9], v1 offset:32688
	v_add_f64 v[14:15], v[16:17], -v[14:15]
	v_add_f64 v[16:17], v[30:31], -v[38:39]
	ds_write_b128 v1, v[14:17] offset:8176
	ds_read_b128 v[14:17], v1 offset:32752
	s_waitcnt lgkmcnt(2)
	v_mul_f64 v[30:31], v[2:3], -v[8:9]
	v_fmac_f64_e32 v[30:31], v[6:7], v[36:37]
	v_mul_f64 v[6:7], v[2:3], v[6:7]
	v_fmac_f64_e32 v[6:7], v[8:9], v[36:37]
	s_waitcnt lgkmcnt(0)
	v_add_f64 v[8:9], v[14:15], -v[30:31]
	v_add_f64 v[14:15], v[16:17], -v[6:7]
	v_mul_f64 v[6:7], v[28:29], -v[12:13]
	v_fmac_f64_e32 v[6:7], v[10:11], v[40:41]
	v_mul_f64 v[10:11], v[28:29], v[10:11]
	v_fmac_f64_e32 v[10:11], v[12:13], v[40:41]
	v_add_f64 v[6:7], v[8:9], -v[6:7]
	v_add_f64 v[8:9], v[14:15], -v[10:11]
	ds_write_b128 v1, v[6:9] offset:32752
	v_mul_f64 v[6:7], v[2:3], v[26:27]
	v_mul_f64 v[2:3], v[2:3], -v[24:25]
	v_fma_f64 v[6:7], -v[24:25], v[36:37], v[6:7]
	v_fma_f64 v[8:9], -v[26:27], v[36:37], v[2:3]
	v_mul_f64 v[2:3], v[28:29], v[34:35]
	ds_write_b128 v23, v[6:9]
	v_fma_f64 v[6:7], -v[32:33], v[40:41], v[2:3]
	v_mul_f64 v[2:3], v[28:29], -v[32:33]
	v_fma_f64 v[8:9], -v[34:35], v[40:41], v[2:3]
	ds_write_b128 v1, v[6:9] offset:16368
.LBB71_6:
	s_or_b64 exec, exec, s[6:7]
	s_waitcnt lgkmcnt(0)
	s_barrier
	s_and_saveexec_b64 s[6:7], s[4:5]
	s_cbranch_execz .LBB71_8
; %bb.7:
	v_add_u32_e32 v2, -16, v1
	ds_read_b128 v[6:9], v2
	ds_read_b128 v[10:13], v1 offset:8176
	ds_read_b128 v[14:17], v1 offset:16368
	;; [unrolled: 1-line block ×3, first 2 shown]
	s_waitcnt lgkmcnt(3)
	ds_write_b128 v22, v[6:9] offset:40960
	s_waitcnt lgkmcnt(3)
	ds_write_b128 v22, v[10:13] offset:41984
	;; [unrolled: 2-line block ×4, first 2 shown]
.LBB71_8:
	s_or_b64 exec, exec, s[6:7]
	v_or_b32_e32 v25, 0xa000, v22
	v_add_u32_e32 v24, 0xa800, v22
	v_add_u32_e32 v26, 0xa400, v22
	v_or_b32_e32 v23, 0xb000, v22
	s_waitcnt lgkmcnt(0)
	s_barrier
                                        ; implicit-def: $vgpr6_vgpr7
                                        ; implicit-def: $vgpr14_vgpr15
                                        ; implicit-def: $vgpr2_vgpr3
                                        ; implicit-def: $vgpr10_vgpr11
	s_and_saveexec_b64 s[6:7], s[4:5]
	s_cbranch_execz .LBB71_10
; %bb.9:
	v_sub_u32_e64 v2, v0, 1 clamp
	v_lshlrev_b32_e32 v27, 4, v2
	ds_read_b128 v[6:9], v27 offset:41984
	v_min_u32_e32 v34, 63, v4
	v_lshlrev_b32_e32 v48, 4, v34
	ds_read_b128 v[12:15], v27 offset:40960
	ds_read_b128 v[2:5], v25
	s_waitcnt lgkmcnt(2)
	v_mul_f64 v[10:11], v[8:9], v[8:9]
	v_fmac_f64_e32 v[10:11], v[6:7], v[6:7]
	v_div_scale_f64 v[16:17], s[8:9], v[10:11], v[10:11], 1.0
	v_rcp_f64_e32 v[28:29], v[16:17]
	v_div_scale_f64 v[30:31], vcc, 1.0, v[10:11], 1.0
	v_fma_f64 v[32:33], -v[16:17], v[28:29], 1.0
	v_fmac_f64_e32 v[28:29], v[28:29], v[32:33]
	v_fma_f64 v[32:33], -v[16:17], v[28:29], 1.0
	v_fmac_f64_e32 v[28:29], v[28:29], v[32:33]
	v_mul_f64 v[32:33], v[30:31], v[28:29]
	v_fma_f64 v[16:17], -v[16:17], v[32:33], v[30:31]
	v_div_fmas_f64 v[16:17], v[16:17], v[28:29], v[32:33]
	ds_read_b128 v[28:31], v48 offset:41984
	ds_read_b128 v[32:35], v24
	v_div_fixup_f64 v[10:11], v[16:17], v[10:11], 1.0
	s_waitcnt lgkmcnt(2)
	v_mul_f64 v[16:17], v[8:9], v[4:5]
	v_fmac_f64_e32 v[16:17], v[2:3], v[6:7]
	s_waitcnt lgkmcnt(1)
	v_mul_f64 v[40:41], v[30:31], v[30:31]
	v_fmac_f64_e32 v[40:41], v[28:29], v[28:29]
	v_div_scale_f64 v[42:43], s[8:9], v[40:41], v[40:41], 1.0
	v_rcp_f64_e32 v[44:45], v[42:43]
	v_mul_f64 v[2:3], v[8:9], -v[2:3]
	v_fmac_f64_e32 v[2:3], v[4:5], v[6:7]
	v_mul_f64 v[46:47], v[10:11], v[2:3]
	v_fma_f64 v[2:3], -v[42:43], v[44:45], 1.0
	v_fmac_f64_e32 v[44:45], v[44:45], v[2:3]
	v_fma_f64 v[2:3], -v[42:43], v[44:45], 1.0
	v_fmac_f64_e32 v[44:45], v[44:45], v[2:3]
	v_div_scale_f64 v[2:3], vcc, 1.0, v[40:41], 1.0
	v_mul_f64 v[4:5], v[2:3], v[44:45]
	v_fma_f64 v[2:3], -v[42:43], v[4:5], v[2:3]
	s_waitcnt lgkmcnt(0)
	v_mul_f64 v[8:9], v[30:31], -v[32:33]
	v_div_fmas_f64 v[2:3], v[2:3], v[44:45], v[4:5]
	v_div_fixup_f64 v[6:7], v[2:3], v[40:41], 1.0
	v_mul_f64 v[2:3], v[30:31], v[34:35]
	v_fmac_f64_e32 v[2:3], v[32:33], v[28:29]
	v_mul_f64 v[40:41], v[6:7], v[2:3]
	ds_read_b128 v[2:5], v27 offset:43008
	ds_read_b128 v[36:39], v48 offset:40960
	v_fmac_f64_e32 v[8:9], v[34:35], v[28:29]
	ds_read_b128 v[28:31], v26
	ds_read_b128 v[32:35], v23
	v_mul_f64 v[16:17], v[10:11], v[16:17]
	v_mul_f64 v[42:43], v[6:7], v[8:9]
	ds_read_b128 v[6:9], v27 offset:45056
	s_waitcnt lgkmcnt(4)
	v_mul_f64 v[10:11], v[46:47], -v[4:5]
	v_fmac_f64_e32 v[10:11], v[2:3], v[16:17]
	v_mul_f64 v[2:3], v[46:47], v[2:3]
	v_fmac_f64_e32 v[2:3], v[4:5], v[16:17]
	s_waitcnt lgkmcnt(2)
	v_add_f64 v[4:5], v[28:29], -v[10:11]
	v_add_f64 v[10:11], v[30:31], -v[2:3]
	v_mul_f64 v[2:3], v[42:43], -v[38:39]
	v_mul_f64 v[28:29], v[42:43], v[36:37]
	v_fmac_f64_e32 v[2:3], v[36:37], v[40:41]
	v_fmac_f64_e32 v[28:29], v[38:39], v[40:41]
	v_add_f64 v[2:3], v[4:5], -v[2:3]
	v_add_f64 v[4:5], v[10:11], -v[28:29]
	ds_read_b128 v[28:31], v48 offset:45056
	s_waitcnt lgkmcnt(1)
	v_mul_f64 v[10:11], v[46:47], -v[8:9]
	v_fmac_f64_e32 v[10:11], v[6:7], v[16:17]
	v_mul_f64 v[6:7], v[46:47], v[6:7]
	v_fmac_f64_e32 v[6:7], v[8:9], v[16:17]
	v_add_f64 v[8:9], v[32:33], -v[10:11]
	v_add_f64 v[10:11], v[34:35], -v[6:7]
	ds_read_b128 v[32:35], v48 offset:43008
	s_waitcnt lgkmcnt(1)
	v_mul_f64 v[6:7], v[42:43], -v[30:31]
	v_fmac_f64_e32 v[6:7], v[28:29], v[40:41]
	v_mul_f64 v[28:29], v[42:43], v[28:29]
	v_fmac_f64_e32 v[28:29], v[30:31], v[40:41]
	v_add_f64 v[6:7], v[8:9], -v[6:7]
	v_add_f64 v[8:9], v[10:11], -v[28:29]
	v_mul_f64 v[10:11], v[46:47], v[14:15]
	v_fma_f64 v[10:11], -v[12:13], v[16:17], v[10:11]
	v_mul_f64 v[12:13], v[46:47], -v[12:13]
	v_fma_f64 v[12:13], -v[14:15], v[16:17], v[12:13]
	s_waitcnt lgkmcnt(0)
	v_mul_f64 v[14:15], v[42:43], v[34:35]
	v_mul_f64 v[16:17], v[42:43], -v[32:33]
	v_fma_f64 v[14:15], -v[32:33], v[40:41], v[14:15]
	v_fma_f64 v[16:17], -v[34:35], v[40:41], v[16:17]
.LBB71_10:
	s_or_b64 exec, exec, s[6:7]
	s_barrier
	s_and_saveexec_b64 s[6:7], s[4:5]
	s_cbranch_execz .LBB71_12
; %bb.11:
	ds_write_b128 v26, v[2:5]
	ds_write_b128 v23, v[6:9]
	;; [unrolled: 1-line block ×4, first 2 shown]
.LBB71_12:
	s_or_b64 exec, exec, s[6:7]
	s_waitcnt lgkmcnt(0)
	s_barrier
	s_and_saveexec_b64 s[6:7], s[4:5]
	s_cbranch_execz .LBB71_14
; %bb.13:
	v_sub_u32_e64 v2, v0, 2 clamp
	v_lshlrev_b32_e32 v27, 4, v2
	ds_read_b128 v[2:5], v27 offset:41984
	v_min_u32_e32 v34, 61, v0
	v_lshlrev_b32_e32 v48, 4, v34
	ds_read_b128 v[12:15], v27 offset:40960
	ds_read_b128 v[6:9], v25
	s_waitcnt lgkmcnt(2)
	v_mul_f64 v[10:11], v[4:5], v[4:5]
	v_fmac_f64_e32 v[10:11], v[2:3], v[2:3]
	v_div_scale_f64 v[16:17], s[8:9], v[10:11], v[10:11], 1.0
	v_rcp_f64_e32 v[28:29], v[16:17]
	v_div_scale_f64 v[30:31], vcc, 1.0, v[10:11], 1.0
	v_fma_f64 v[32:33], -v[16:17], v[28:29], 1.0
	v_fmac_f64_e32 v[28:29], v[28:29], v[32:33]
	v_fma_f64 v[32:33], -v[16:17], v[28:29], 1.0
	v_fmac_f64_e32 v[28:29], v[28:29], v[32:33]
	v_mul_f64 v[32:33], v[30:31], v[28:29]
	v_fma_f64 v[16:17], -v[16:17], v[32:33], v[30:31]
	v_div_fmas_f64 v[16:17], v[16:17], v[28:29], v[32:33]
	ds_read_b128 v[28:31], v48 offset:42016
	ds_read_b128 v[32:35], v24
	v_div_fixup_f64 v[10:11], v[16:17], v[10:11], 1.0
	s_waitcnt lgkmcnt(2)
	v_mul_f64 v[16:17], v[4:5], v[8:9]
	v_mul_f64 v[4:5], v[4:5], -v[6:7]
	s_waitcnt lgkmcnt(1)
	v_mul_f64 v[40:41], v[30:31], v[30:31]
	v_fmac_f64_e32 v[40:41], v[28:29], v[28:29]
	v_div_scale_f64 v[42:43], s[8:9], v[40:41], v[40:41], 1.0
	v_rcp_f64_e32 v[44:45], v[42:43]
	v_fmac_f64_e32 v[16:17], v[6:7], v[2:3]
	v_fmac_f64_e32 v[4:5], v[8:9], v[2:3]
	v_mul_f64 v[46:47], v[10:11], v[4:5]
	v_fma_f64 v[2:3], -v[42:43], v[44:45], 1.0
	v_fmac_f64_e32 v[44:45], v[44:45], v[2:3]
	v_fma_f64 v[2:3], -v[42:43], v[44:45], 1.0
	v_fmac_f64_e32 v[44:45], v[44:45], v[2:3]
	v_div_scale_f64 v[2:3], vcc, 1.0, v[40:41], 1.0
	v_mul_f64 v[4:5], v[2:3], v[44:45]
	v_fma_f64 v[2:3], -v[42:43], v[4:5], v[2:3]
	s_waitcnt lgkmcnt(0)
	v_mul_f64 v[8:9], v[30:31], -v[32:33]
	v_div_fmas_f64 v[2:3], v[2:3], v[44:45], v[4:5]
	v_div_fixup_f64 v[6:7], v[2:3], v[40:41], 1.0
	v_mul_f64 v[2:3], v[30:31], v[34:35]
	v_fmac_f64_e32 v[2:3], v[32:33], v[28:29]
	v_mul_f64 v[40:41], v[6:7], v[2:3]
	ds_read_b128 v[2:5], v27 offset:43008
	ds_read_b128 v[36:39], v48 offset:40992
	v_fmac_f64_e32 v[8:9], v[34:35], v[28:29]
	ds_read_b128 v[28:31], v26
	ds_read_b128 v[32:35], v23
	v_mul_f64 v[16:17], v[10:11], v[16:17]
	v_mul_f64 v[42:43], v[6:7], v[8:9]
	ds_read_b128 v[6:9], v27 offset:45056
	s_waitcnt lgkmcnt(4)
	v_mul_f64 v[10:11], v[46:47], -v[4:5]
	v_fmac_f64_e32 v[10:11], v[2:3], v[16:17]
	v_mul_f64 v[2:3], v[46:47], v[2:3]
	v_fmac_f64_e32 v[2:3], v[4:5], v[16:17]
	s_waitcnt lgkmcnt(2)
	v_add_f64 v[4:5], v[28:29], -v[10:11]
	v_add_f64 v[10:11], v[30:31], -v[2:3]
	v_mul_f64 v[2:3], v[42:43], -v[38:39]
	v_mul_f64 v[28:29], v[42:43], v[36:37]
	v_fmac_f64_e32 v[2:3], v[36:37], v[40:41]
	v_fmac_f64_e32 v[28:29], v[38:39], v[40:41]
	v_add_f64 v[2:3], v[4:5], -v[2:3]
	v_add_f64 v[4:5], v[10:11], -v[28:29]
	ds_read_b128 v[28:31], v48 offset:45088
	s_waitcnt lgkmcnt(1)
	v_mul_f64 v[10:11], v[46:47], -v[8:9]
	v_fmac_f64_e32 v[10:11], v[6:7], v[16:17]
	v_mul_f64 v[6:7], v[46:47], v[6:7]
	v_fmac_f64_e32 v[6:7], v[8:9], v[16:17]
	v_add_f64 v[8:9], v[32:33], -v[10:11]
	v_add_f64 v[10:11], v[34:35], -v[6:7]
	ds_read_b128 v[32:35], v48 offset:43040
	s_waitcnt lgkmcnt(1)
	v_mul_f64 v[6:7], v[42:43], -v[30:31]
	v_fmac_f64_e32 v[6:7], v[28:29], v[40:41]
	v_mul_f64 v[28:29], v[42:43], v[28:29]
	v_fmac_f64_e32 v[28:29], v[30:31], v[40:41]
	v_add_f64 v[6:7], v[8:9], -v[6:7]
	v_add_f64 v[8:9], v[10:11], -v[28:29]
	v_mul_f64 v[10:11], v[46:47], v[14:15]
	v_fma_f64 v[10:11], -v[12:13], v[16:17], v[10:11]
	v_mul_f64 v[12:13], v[46:47], -v[12:13]
	v_fma_f64 v[12:13], -v[14:15], v[16:17], v[12:13]
	s_waitcnt lgkmcnt(0)
	v_mul_f64 v[14:15], v[42:43], v[34:35]
	v_mul_f64 v[16:17], v[42:43], -v[32:33]
	v_fma_f64 v[14:15], -v[32:33], v[40:41], v[14:15]
	v_fma_f64 v[16:17], -v[34:35], v[40:41], v[16:17]
.LBB71_14:
	s_or_b64 exec, exec, s[6:7]
	s_barrier
	s_and_saveexec_b64 s[6:7], s[4:5]
	s_cbranch_execz .LBB71_16
; %bb.15:
	ds_write_b128 v26, v[2:5]
	ds_write_b128 v23, v[6:9]
	;; [unrolled: 1-line block ×4, first 2 shown]
.LBB71_16:
	s_or_b64 exec, exec, s[6:7]
	s_waitcnt lgkmcnt(0)
	s_barrier
	s_and_saveexec_b64 s[6:7], s[4:5]
	s_cbranch_execz .LBB71_18
; %bb.17:
	v_sub_u32_e64 v2, v0, 4 clamp
	v_lshlrev_b32_e32 v27, 4, v2
	ds_read_b128 v[2:5], v27 offset:41984
	v_min_u32_e32 v34, 59, v0
	v_lshlrev_b32_e32 v48, 4, v34
	ds_read_b128 v[12:15], v27 offset:40960
	ds_read_b128 v[6:9], v25
	s_waitcnt lgkmcnt(2)
	v_mul_f64 v[10:11], v[4:5], v[4:5]
	v_fmac_f64_e32 v[10:11], v[2:3], v[2:3]
	v_div_scale_f64 v[16:17], s[8:9], v[10:11], v[10:11], 1.0
	v_rcp_f64_e32 v[28:29], v[16:17]
	v_div_scale_f64 v[30:31], vcc, 1.0, v[10:11], 1.0
	v_fma_f64 v[32:33], -v[16:17], v[28:29], 1.0
	v_fmac_f64_e32 v[28:29], v[28:29], v[32:33]
	v_fma_f64 v[32:33], -v[16:17], v[28:29], 1.0
	v_fmac_f64_e32 v[28:29], v[28:29], v[32:33]
	v_mul_f64 v[32:33], v[30:31], v[28:29]
	v_fma_f64 v[16:17], -v[16:17], v[32:33], v[30:31]
	v_div_fmas_f64 v[16:17], v[16:17], v[28:29], v[32:33]
	ds_read_b128 v[28:31], v48 offset:42048
	ds_read_b128 v[32:35], v24
	v_div_fixup_f64 v[10:11], v[16:17], v[10:11], 1.0
	s_waitcnt lgkmcnt(2)
	v_mul_f64 v[16:17], v[4:5], v[8:9]
	v_mul_f64 v[4:5], v[4:5], -v[6:7]
	s_waitcnt lgkmcnt(1)
	v_mul_f64 v[40:41], v[30:31], v[30:31]
	v_fmac_f64_e32 v[40:41], v[28:29], v[28:29]
	v_div_scale_f64 v[42:43], s[8:9], v[40:41], v[40:41], 1.0
	v_rcp_f64_e32 v[44:45], v[42:43]
	v_fmac_f64_e32 v[16:17], v[6:7], v[2:3]
	v_fmac_f64_e32 v[4:5], v[8:9], v[2:3]
	v_mul_f64 v[46:47], v[10:11], v[4:5]
	v_fma_f64 v[2:3], -v[42:43], v[44:45], 1.0
	v_fmac_f64_e32 v[44:45], v[44:45], v[2:3]
	v_fma_f64 v[2:3], -v[42:43], v[44:45], 1.0
	v_fmac_f64_e32 v[44:45], v[44:45], v[2:3]
	v_div_scale_f64 v[2:3], vcc, 1.0, v[40:41], 1.0
	v_mul_f64 v[4:5], v[2:3], v[44:45]
	v_fma_f64 v[2:3], -v[42:43], v[4:5], v[2:3]
	s_waitcnt lgkmcnt(0)
	v_mul_f64 v[8:9], v[30:31], -v[32:33]
	v_div_fmas_f64 v[2:3], v[2:3], v[44:45], v[4:5]
	v_div_fixup_f64 v[6:7], v[2:3], v[40:41], 1.0
	v_mul_f64 v[2:3], v[30:31], v[34:35]
	v_fmac_f64_e32 v[2:3], v[32:33], v[28:29]
	v_mul_f64 v[40:41], v[6:7], v[2:3]
	ds_read_b128 v[2:5], v27 offset:43008
	ds_read_b128 v[36:39], v48 offset:41024
	v_fmac_f64_e32 v[8:9], v[34:35], v[28:29]
	ds_read_b128 v[28:31], v26
	ds_read_b128 v[32:35], v23
	v_mul_f64 v[16:17], v[10:11], v[16:17]
	v_mul_f64 v[42:43], v[6:7], v[8:9]
	ds_read_b128 v[6:9], v27 offset:45056
	s_waitcnt lgkmcnt(4)
	v_mul_f64 v[10:11], v[46:47], -v[4:5]
	v_fmac_f64_e32 v[10:11], v[2:3], v[16:17]
	v_mul_f64 v[2:3], v[46:47], v[2:3]
	v_fmac_f64_e32 v[2:3], v[4:5], v[16:17]
	s_waitcnt lgkmcnt(2)
	v_add_f64 v[4:5], v[28:29], -v[10:11]
	v_add_f64 v[10:11], v[30:31], -v[2:3]
	v_mul_f64 v[2:3], v[42:43], -v[38:39]
	v_mul_f64 v[28:29], v[42:43], v[36:37]
	v_fmac_f64_e32 v[2:3], v[36:37], v[40:41]
	v_fmac_f64_e32 v[28:29], v[38:39], v[40:41]
	v_add_f64 v[2:3], v[4:5], -v[2:3]
	v_add_f64 v[4:5], v[10:11], -v[28:29]
	ds_read_b128 v[28:31], v48 offset:45120
	s_waitcnt lgkmcnt(1)
	v_mul_f64 v[10:11], v[46:47], -v[8:9]
	v_fmac_f64_e32 v[10:11], v[6:7], v[16:17]
	v_mul_f64 v[6:7], v[46:47], v[6:7]
	v_fmac_f64_e32 v[6:7], v[8:9], v[16:17]
	v_add_f64 v[8:9], v[32:33], -v[10:11]
	v_add_f64 v[10:11], v[34:35], -v[6:7]
	ds_read_b128 v[32:35], v48 offset:43072
	s_waitcnt lgkmcnt(1)
	v_mul_f64 v[6:7], v[42:43], -v[30:31]
	v_fmac_f64_e32 v[6:7], v[28:29], v[40:41]
	v_mul_f64 v[28:29], v[42:43], v[28:29]
	v_fmac_f64_e32 v[28:29], v[30:31], v[40:41]
	v_add_f64 v[6:7], v[8:9], -v[6:7]
	v_add_f64 v[8:9], v[10:11], -v[28:29]
	v_mul_f64 v[10:11], v[46:47], v[14:15]
	v_fma_f64 v[10:11], -v[12:13], v[16:17], v[10:11]
	v_mul_f64 v[12:13], v[46:47], -v[12:13]
	v_fma_f64 v[12:13], -v[14:15], v[16:17], v[12:13]
	s_waitcnt lgkmcnt(0)
	v_mul_f64 v[14:15], v[42:43], v[34:35]
	v_mul_f64 v[16:17], v[42:43], -v[32:33]
	v_fma_f64 v[14:15], -v[32:33], v[40:41], v[14:15]
	v_fma_f64 v[16:17], -v[34:35], v[40:41], v[16:17]
.LBB71_18:
	s_or_b64 exec, exec, s[6:7]
	s_barrier
	s_and_saveexec_b64 s[6:7], s[4:5]
	s_cbranch_execz .LBB71_20
; %bb.19:
	ds_write_b128 v26, v[2:5]
	ds_write_b128 v23, v[6:9]
	;; [unrolled: 1-line block ×4, first 2 shown]
.LBB71_20:
	s_or_b64 exec, exec, s[6:7]
	s_waitcnt lgkmcnt(0)
	s_barrier
	s_and_saveexec_b64 s[6:7], s[4:5]
	s_cbranch_execz .LBB71_22
; %bb.21:
	v_sub_u32_e64 v2, v0, 8 clamp
	v_lshlrev_b32_e32 v27, 4, v2
	ds_read_b128 v[2:5], v27 offset:41984
	v_min_u32_e32 v34, 55, v0
	v_lshlrev_b32_e32 v48, 4, v34
	ds_read_b128 v[12:15], v27 offset:40960
	ds_read_b128 v[6:9], v25
	s_waitcnt lgkmcnt(2)
	v_mul_f64 v[10:11], v[4:5], v[4:5]
	v_fmac_f64_e32 v[10:11], v[2:3], v[2:3]
	v_div_scale_f64 v[16:17], s[8:9], v[10:11], v[10:11], 1.0
	v_rcp_f64_e32 v[28:29], v[16:17]
	v_div_scale_f64 v[30:31], vcc, 1.0, v[10:11], 1.0
	v_fma_f64 v[32:33], -v[16:17], v[28:29], 1.0
	v_fmac_f64_e32 v[28:29], v[28:29], v[32:33]
	v_fma_f64 v[32:33], -v[16:17], v[28:29], 1.0
	v_fmac_f64_e32 v[28:29], v[28:29], v[32:33]
	v_mul_f64 v[32:33], v[30:31], v[28:29]
	v_fma_f64 v[16:17], -v[16:17], v[32:33], v[30:31]
	v_div_fmas_f64 v[16:17], v[16:17], v[28:29], v[32:33]
	ds_read_b128 v[28:31], v48 offset:42112
	ds_read_b128 v[32:35], v24
	v_div_fixup_f64 v[10:11], v[16:17], v[10:11], 1.0
	s_waitcnt lgkmcnt(2)
	v_mul_f64 v[16:17], v[4:5], v[8:9]
	v_mul_f64 v[4:5], v[4:5], -v[6:7]
	s_waitcnt lgkmcnt(1)
	v_mul_f64 v[40:41], v[30:31], v[30:31]
	v_fmac_f64_e32 v[40:41], v[28:29], v[28:29]
	v_div_scale_f64 v[42:43], s[8:9], v[40:41], v[40:41], 1.0
	v_rcp_f64_e32 v[44:45], v[42:43]
	v_fmac_f64_e32 v[16:17], v[6:7], v[2:3]
	v_fmac_f64_e32 v[4:5], v[8:9], v[2:3]
	v_mul_f64 v[46:47], v[10:11], v[4:5]
	v_fma_f64 v[2:3], -v[42:43], v[44:45], 1.0
	v_fmac_f64_e32 v[44:45], v[44:45], v[2:3]
	v_fma_f64 v[2:3], -v[42:43], v[44:45], 1.0
	v_fmac_f64_e32 v[44:45], v[44:45], v[2:3]
	v_div_scale_f64 v[2:3], vcc, 1.0, v[40:41], 1.0
	v_mul_f64 v[4:5], v[2:3], v[44:45]
	v_fma_f64 v[2:3], -v[42:43], v[4:5], v[2:3]
	s_waitcnt lgkmcnt(0)
	v_mul_f64 v[8:9], v[30:31], -v[32:33]
	v_div_fmas_f64 v[2:3], v[2:3], v[44:45], v[4:5]
	v_div_fixup_f64 v[6:7], v[2:3], v[40:41], 1.0
	v_mul_f64 v[2:3], v[30:31], v[34:35]
	v_fmac_f64_e32 v[2:3], v[32:33], v[28:29]
	v_mul_f64 v[40:41], v[6:7], v[2:3]
	ds_read_b128 v[2:5], v27 offset:43008
	ds_read_b128 v[36:39], v48 offset:41088
	v_fmac_f64_e32 v[8:9], v[34:35], v[28:29]
	ds_read_b128 v[28:31], v26
	ds_read_b128 v[32:35], v23
	v_mul_f64 v[16:17], v[10:11], v[16:17]
	v_mul_f64 v[42:43], v[6:7], v[8:9]
	ds_read_b128 v[6:9], v27 offset:45056
	s_waitcnt lgkmcnt(4)
	v_mul_f64 v[10:11], v[46:47], -v[4:5]
	v_fmac_f64_e32 v[10:11], v[2:3], v[16:17]
	v_mul_f64 v[2:3], v[46:47], v[2:3]
	v_fmac_f64_e32 v[2:3], v[4:5], v[16:17]
	s_waitcnt lgkmcnt(2)
	v_add_f64 v[4:5], v[28:29], -v[10:11]
	v_add_f64 v[10:11], v[30:31], -v[2:3]
	v_mul_f64 v[2:3], v[42:43], -v[38:39]
	v_mul_f64 v[28:29], v[42:43], v[36:37]
	v_fmac_f64_e32 v[2:3], v[36:37], v[40:41]
	v_fmac_f64_e32 v[28:29], v[38:39], v[40:41]
	v_add_f64 v[2:3], v[4:5], -v[2:3]
	v_add_f64 v[4:5], v[10:11], -v[28:29]
	ds_read_b128 v[28:31], v48 offset:45184
	s_waitcnt lgkmcnt(1)
	v_mul_f64 v[10:11], v[46:47], -v[8:9]
	v_fmac_f64_e32 v[10:11], v[6:7], v[16:17]
	v_mul_f64 v[6:7], v[46:47], v[6:7]
	v_fmac_f64_e32 v[6:7], v[8:9], v[16:17]
	v_add_f64 v[8:9], v[32:33], -v[10:11]
	v_add_f64 v[10:11], v[34:35], -v[6:7]
	ds_read_b128 v[32:35], v48 offset:43136
	s_waitcnt lgkmcnt(1)
	v_mul_f64 v[6:7], v[42:43], -v[30:31]
	v_fmac_f64_e32 v[6:7], v[28:29], v[40:41]
	v_mul_f64 v[28:29], v[42:43], v[28:29]
	v_fmac_f64_e32 v[28:29], v[30:31], v[40:41]
	v_add_f64 v[6:7], v[8:9], -v[6:7]
	v_add_f64 v[8:9], v[10:11], -v[28:29]
	v_mul_f64 v[10:11], v[46:47], v[14:15]
	v_fma_f64 v[10:11], -v[12:13], v[16:17], v[10:11]
	v_mul_f64 v[12:13], v[46:47], -v[12:13]
	v_fma_f64 v[12:13], -v[14:15], v[16:17], v[12:13]
	s_waitcnt lgkmcnt(0)
	v_mul_f64 v[14:15], v[42:43], v[34:35]
	v_mul_f64 v[16:17], v[42:43], -v[32:33]
	v_fma_f64 v[14:15], -v[32:33], v[40:41], v[14:15]
	v_fma_f64 v[16:17], -v[34:35], v[40:41], v[16:17]
.LBB71_22:
	s_or_b64 exec, exec, s[6:7]
	s_barrier
	s_and_saveexec_b64 s[6:7], s[4:5]
	s_cbranch_execz .LBB71_24
; %bb.23:
	ds_write_b128 v26, v[2:5]
	ds_write_b128 v23, v[6:9]
	;; [unrolled: 1-line block ×4, first 2 shown]
.LBB71_24:
	s_or_b64 exec, exec, s[6:7]
	s_waitcnt lgkmcnt(0)
	s_barrier
	s_and_saveexec_b64 s[6:7], s[4:5]
	s_cbranch_execz .LBB71_26
; %bb.25:
	v_sub_u32_e64 v2, v0, 16 clamp
	v_lshlrev_b32_e32 v27, 4, v2
	ds_read_b128 v[2:5], v27 offset:41984
	v_min_u32_e32 v34, 47, v0
	v_lshlrev_b32_e32 v48, 4, v34
	ds_read_b128 v[12:15], v27 offset:40960
	ds_read_b128 v[6:9], v25
	s_waitcnt lgkmcnt(2)
	v_mul_f64 v[10:11], v[4:5], v[4:5]
	v_fmac_f64_e32 v[10:11], v[2:3], v[2:3]
	v_div_scale_f64 v[16:17], s[8:9], v[10:11], v[10:11], 1.0
	v_rcp_f64_e32 v[28:29], v[16:17]
	v_div_scale_f64 v[30:31], vcc, 1.0, v[10:11], 1.0
	v_fma_f64 v[32:33], -v[16:17], v[28:29], 1.0
	v_fmac_f64_e32 v[28:29], v[28:29], v[32:33]
	v_fma_f64 v[32:33], -v[16:17], v[28:29], 1.0
	v_fmac_f64_e32 v[28:29], v[28:29], v[32:33]
	v_mul_f64 v[32:33], v[30:31], v[28:29]
	v_fma_f64 v[16:17], -v[16:17], v[32:33], v[30:31]
	v_div_fmas_f64 v[16:17], v[16:17], v[28:29], v[32:33]
	ds_read_b128 v[28:31], v48 offset:42240
	ds_read_b128 v[32:35], v24
	v_div_fixup_f64 v[10:11], v[16:17], v[10:11], 1.0
	s_waitcnt lgkmcnt(2)
	v_mul_f64 v[16:17], v[4:5], v[8:9]
	v_mul_f64 v[4:5], v[4:5], -v[6:7]
	s_waitcnt lgkmcnt(1)
	v_mul_f64 v[40:41], v[30:31], v[30:31]
	v_fmac_f64_e32 v[40:41], v[28:29], v[28:29]
	v_div_scale_f64 v[42:43], s[8:9], v[40:41], v[40:41], 1.0
	v_rcp_f64_e32 v[44:45], v[42:43]
	v_fmac_f64_e32 v[16:17], v[6:7], v[2:3]
	v_fmac_f64_e32 v[4:5], v[8:9], v[2:3]
	v_mul_f64 v[46:47], v[10:11], v[4:5]
	v_fma_f64 v[2:3], -v[42:43], v[44:45], 1.0
	v_fmac_f64_e32 v[44:45], v[44:45], v[2:3]
	v_fma_f64 v[2:3], -v[42:43], v[44:45], 1.0
	v_fmac_f64_e32 v[44:45], v[44:45], v[2:3]
	v_div_scale_f64 v[2:3], vcc, 1.0, v[40:41], 1.0
	v_mul_f64 v[4:5], v[2:3], v[44:45]
	v_fma_f64 v[2:3], -v[42:43], v[4:5], v[2:3]
	s_waitcnt lgkmcnt(0)
	v_mul_f64 v[8:9], v[30:31], -v[32:33]
	v_div_fmas_f64 v[2:3], v[2:3], v[44:45], v[4:5]
	v_div_fixup_f64 v[6:7], v[2:3], v[40:41], 1.0
	v_mul_f64 v[2:3], v[30:31], v[34:35]
	v_fmac_f64_e32 v[2:3], v[32:33], v[28:29]
	v_mul_f64 v[40:41], v[6:7], v[2:3]
	ds_read_b128 v[2:5], v27 offset:43008
	ds_read_b128 v[36:39], v48 offset:41216
	v_fmac_f64_e32 v[8:9], v[34:35], v[28:29]
	ds_read_b128 v[28:31], v26
	ds_read_b128 v[32:35], v23
	v_mul_f64 v[16:17], v[10:11], v[16:17]
	v_mul_f64 v[42:43], v[6:7], v[8:9]
	ds_read_b128 v[6:9], v27 offset:45056
	s_waitcnt lgkmcnt(4)
	v_mul_f64 v[10:11], v[46:47], -v[4:5]
	v_fmac_f64_e32 v[10:11], v[2:3], v[16:17]
	v_mul_f64 v[2:3], v[46:47], v[2:3]
	v_fmac_f64_e32 v[2:3], v[4:5], v[16:17]
	s_waitcnt lgkmcnt(2)
	v_add_f64 v[4:5], v[28:29], -v[10:11]
	v_add_f64 v[10:11], v[30:31], -v[2:3]
	v_mul_f64 v[2:3], v[42:43], -v[38:39]
	v_mul_f64 v[28:29], v[42:43], v[36:37]
	v_fmac_f64_e32 v[2:3], v[36:37], v[40:41]
	v_fmac_f64_e32 v[28:29], v[38:39], v[40:41]
	v_add_f64 v[2:3], v[4:5], -v[2:3]
	v_add_f64 v[4:5], v[10:11], -v[28:29]
	ds_read_b128 v[28:31], v48 offset:45312
	s_waitcnt lgkmcnt(1)
	v_mul_f64 v[10:11], v[46:47], -v[8:9]
	v_fmac_f64_e32 v[10:11], v[6:7], v[16:17]
	v_mul_f64 v[6:7], v[46:47], v[6:7]
	v_fmac_f64_e32 v[6:7], v[8:9], v[16:17]
	v_add_f64 v[8:9], v[32:33], -v[10:11]
	v_add_f64 v[10:11], v[34:35], -v[6:7]
	ds_read_b128 v[32:35], v48 offset:43264
	s_waitcnt lgkmcnt(1)
	v_mul_f64 v[6:7], v[42:43], -v[30:31]
	v_fmac_f64_e32 v[6:7], v[28:29], v[40:41]
	v_mul_f64 v[28:29], v[42:43], v[28:29]
	v_fmac_f64_e32 v[28:29], v[30:31], v[40:41]
	v_add_f64 v[6:7], v[8:9], -v[6:7]
	v_add_f64 v[8:9], v[10:11], -v[28:29]
	v_mul_f64 v[10:11], v[46:47], v[14:15]
	v_fma_f64 v[10:11], -v[12:13], v[16:17], v[10:11]
	v_mul_f64 v[12:13], v[46:47], -v[12:13]
	v_fma_f64 v[12:13], -v[14:15], v[16:17], v[12:13]
	s_waitcnt lgkmcnt(0)
	v_mul_f64 v[14:15], v[42:43], v[34:35]
	v_mul_f64 v[16:17], v[42:43], -v[32:33]
	v_fma_f64 v[14:15], -v[32:33], v[40:41], v[14:15]
	v_fma_f64 v[16:17], -v[34:35], v[40:41], v[16:17]
.LBB71_26:
	s_or_b64 exec, exec, s[6:7]
	s_barrier
	s_and_saveexec_b64 s[6:7], s[4:5]
	s_cbranch_execz .LBB71_28
; %bb.27:
	ds_write_b128 v26, v[2:5]
	ds_write_b128 v23, v[6:9]
	ds_write_b128 v25, v[10:13]
	ds_write_b128 v24, v[14:17]
.LBB71_28:
	s_or_b64 exec, exec, s[6:7]
	v_cmp_gt_u32_e32 vcc, 32, v0
	s_waitcnt lgkmcnt(0)
	s_barrier
	s_and_saveexec_b64 s[6:7], vcc
	s_cbranch_execz .LBB71_30
; %bb.29:
	ds_read_b128 v[2:5], v26
	ds_read_b128 v[6:9], v26 offset:512
	ds_read_b128 v[10:13], v25 offset:512
	ds_read_b128 v[14:17], v24
	s_waitcnt lgkmcnt(2)
	v_mul_f64 v[26:27], v[4:5], v[6:7]
	v_mul_f64 v[24:25], v[4:5], -v[8:9]
	s_waitcnt lgkmcnt(0)
	v_mul_f64 v[30:31], v[12:13], v[14:15]
	v_fmac_f64_e32 v[26:27], v[8:9], v[2:3]
	v_mul_f64 v[28:29], v[12:13], -v[16:17]
	v_fmac_f64_e32 v[30:31], v[16:17], v[10:11]
	v_fmac_f64_e32 v[24:25], v[6:7], v[2:3]
	;; [unrolled: 1-line block ×3, first 2 shown]
	v_add_f64 v[30:31], v[26:27], -v[30:31]
	v_add_f64 v[28:29], v[24:25], -v[28:29]
	v_mul_f64 v[24:25], v[30:31], v[30:31]
	v_fmac_f64_e32 v[24:25], v[28:29], v[28:29]
	v_div_scale_f64 v[26:27], s[8:9], v[24:25], v[24:25], 1.0
	v_rcp_f64_e32 v[32:33], v[26:27]
	s_nop 0
	v_fma_f64 v[34:35], -v[26:27], v[32:33], 1.0
	v_fmac_f64_e32 v[32:33], v[32:33], v[34:35]
	v_fma_f64 v[34:35], -v[26:27], v[32:33], 1.0
	v_fmac_f64_e32 v[32:33], v[32:33], v[34:35]
	v_div_scale_f64 v[34:35], vcc, 1.0, v[24:25], 1.0
	v_mul_f64 v[36:37], v[34:35], v[32:33]
	v_fma_f64 v[26:27], -v[26:27], v[36:37], v[34:35]
	v_fma_f64 v[34:35], 0, v[30:31], v[28:29]
	s_nop 0
	v_div_fmas_f64 v[26:27], v[26:27], v[32:33], v[36:37]
	v_div_fixup_f64 v[32:33], v[26:27], v[24:25], 1.0
	ds_read_b128 v[24:27], v23
	v_fma_f64 v[28:29], v[28:29], 0, -v[30:31]
	v_mul_f64 v[34:35], v[34:35], v[32:33]
	v_mul_f64 v[32:33], v[28:29], v[32:33]
	ds_read_b128 v[28:31], v23 offset:512
	s_waitcnt lgkmcnt(1)
	v_mul_f64 v[36:37], v[26:27], -v[8:9]
	v_fmac_f64_e32 v[36:37], v[6:7], v[24:25]
	v_mul_f64 v[6:7], v[6:7], v[26:27]
	v_fmac_f64_e32 v[6:7], v[8:9], v[24:25]
	s_waitcnt lgkmcnt(0)
	v_mul_f64 v[8:9], v[30:31], -v[16:17]
	v_fmac_f64_e32 v[8:9], v[14:15], v[28:29]
	v_mul_f64 v[14:15], v[14:15], v[30:31]
	v_fmac_f64_e32 v[14:15], v[16:17], v[28:29]
	v_add_f64 v[14:15], v[6:7], -v[14:15]
	v_add_f64 v[8:9], v[36:37], -v[8:9]
	v_mul_f64 v[6:7], v[32:33], -v[14:15]
	v_fmac_f64_e32 v[6:7], v[8:9], v[34:35]
	v_mul_f64 v[8:9], v[32:33], v[8:9]
	v_fmac_f64_e32 v[8:9], v[14:15], v[34:35]
	ds_write_b128 v22, v[6:9] offset:44032
	v_mul_f64 v[6:7], v[4:5], -v[30:31]
	v_mul_f64 v[4:5], v[4:5], v[28:29]
	v_fmac_f64_e32 v[6:7], v[28:29], v[2:3]
	v_fmac_f64_e32 v[4:5], v[30:31], v[2:3]
	v_mul_f64 v[2:3], v[12:13], -v[26:27]
	v_mul_f64 v[8:9], v[12:13], v[24:25]
	v_fmac_f64_e32 v[2:3], v[24:25], v[10:11]
	v_fmac_f64_e32 v[8:9], v[26:27], v[10:11]
	v_add_f64 v[6:7], v[6:7], -v[2:3]
	v_add_f64 v[8:9], v[4:5], -v[8:9]
	v_mul_f64 v[2:3], v[32:33], -v[8:9]
	v_mul_f64 v[4:5], v[32:33], v[6:7]
	v_fmac_f64_e32 v[2:3], v[6:7], v[34:35]
	v_fmac_f64_e32 v[4:5], v[8:9], v[34:35]
	ds_write_b128 v22, v[2:5] offset:44544
.LBB71_30:
	s_or_b64 exec, exec, s[6:7]
	s_waitcnt lgkmcnt(0)
	s_barrier
	s_and_saveexec_b64 s[6:7], s[4:5]
	s_cbranch_execz .LBB71_32
; %bb.31:
	ds_read_b128 v[2:5], v22 offset:44032
	s_waitcnt lgkmcnt(0)
	ds_write_b128 v1, v[2:5] offset:24560
.LBB71_32:
	s_or_b64 exec, exec, s[6:7]
	s_waitcnt lgkmcnt(0)
	s_barrier
	s_and_saveexec_b64 s[6:7], s[4:5]
	s_cbranch_execz .LBB71_38
; %bb.33:
	v_lshlrev_b32_e32 v1, 3, v0
	v_mov_b32_e32 v2, 0x8000
	v_cmp_ne_u32_e32 vcc, 0, v0
	v_lshl_or_b32 v6, v0, 7, v2
	v_lshlrev_b32_e32 v1, 4, v1
                                        ; implicit-def: $vgpr4_vgpr5
	s_and_saveexec_b64 s[4:5], vcc
	s_xor_b64 s[4:5], exec, s[4:5]
	s_cbranch_execz .LBB71_35
; %bb.34:
	ds_read_b128 v[2:5], v1 offset:24560
	ds_read_b128 v[8:11], v1 offset:48
	;; [unrolled: 1-line block ×6, first 2 shown]
	s_waitcnt lgkmcnt(4)
	v_mul_f64 v[6:7], v[4:5], -v[10:11]
	v_mul_f64 v[4:5], v[4:5], v[8:9]
	v_fmac_f64_e32 v[4:5], v[10:11], v[2:3]
	s_waitcnt lgkmcnt(1)
	v_mul_f64 v[10:11], v[30:31], v[30:31]
	v_fmac_f64_e32 v[6:7], v[8:9], v[2:3]
	v_fmac_f64_e32 v[10:11], v[28:29], v[28:29]
	v_add_f64 v[2:3], v[12:13], -v[6:7]
	v_div_scale_f64 v[12:13], s[8:9], v[10:11], v[10:11], 1.0
	v_add_f64 v[4:5], v[14:15], -v[4:5]
	v_rcp_f64_e32 v[14:15], v[12:13]
	s_waitcnt lgkmcnt(0)
	v_mul_f64 v[6:7], v[34:35], -v[26:27]
	v_fmac_f64_e32 v[6:7], v[24:25], v[32:33]
	v_add_f64 v[6:7], v[2:3], -v[6:7]
	v_fma_f64 v[2:3], -v[12:13], v[14:15], 1.0
	v_fmac_f64_e32 v[14:15], v[14:15], v[2:3]
	v_mul_f64 v[8:9], v[34:35], v[24:25]
	v_fma_f64 v[2:3], -v[12:13], v[14:15], 1.0
	v_fmac_f64_e32 v[8:9], v[26:27], v[32:33]
	v_fmac_f64_e32 v[14:15], v[14:15], v[2:3]
	v_div_scale_f64 v[2:3], vcc, 1.0, v[10:11], 1.0
	v_add_f64 v[4:5], v[4:5], -v[8:9]
	v_mul_f64 v[8:9], v[2:3], v[14:15]
	v_fma_f64 v[2:3], -v[12:13], v[8:9], v[2:3]
	s_nop 0
	v_div_fmas_f64 v[2:3], v[2:3], v[14:15], v[8:9]
	v_div_fixup_f64 v[8:9], v[2:3], v[10:11], 1.0
	v_mul_f64 v[2:3], v[30:31], v[4:5]
	v_fmac_f64_e32 v[2:3], v[6:7], v[28:29]
	v_mul_f64 v[6:7], v[30:31], -v[6:7]
	v_fmac_f64_e32 v[6:7], v[4:5], v[28:29]
	v_mul_f64 v[2:3], v[2:3], v[8:9]
	v_mul_f64 v[4:5], v[8:9], v[6:7]
                                        ; implicit-def: $vgpr6
.LBB71_35:
	s_andn2_saveexec_b64 s[4:5], s[4:5]
	s_cbranch_execz .LBB71_37
; %bb.36:
	ds_read_b128 v[2:5], v1 offset:24688
	ds_read_b128 v[8:11], v1 offset:16432
	;; [unrolled: 1-line block ×4, first 2 shown]
	s_waitcnt lgkmcnt(2)
	v_mul_f64 v[6:7], v[4:5], -v[10:11]
	v_mul_f64 v[4:5], v[4:5], v[8:9]
	v_fmac_f64_e32 v[6:7], v[8:9], v[2:3]
	s_waitcnt lgkmcnt(1)
	v_mul_f64 v[8:9], v[14:15], v[14:15]
	v_fmac_f64_e32 v[8:9], v[12:13], v[12:13]
	v_div_scale_f64 v[16:17], s[8:9], v[8:9], v[8:9], 1.0
	v_rcp_f64_e32 v[28:29], v[16:17]
	v_fmac_f64_e32 v[4:5], v[10:11], v[2:3]
	s_waitcnt lgkmcnt(0)
	v_add_f64 v[4:5], v[26:27], -v[4:5]
	v_add_f64 v[6:7], v[24:25], -v[6:7]
	v_fma_f64 v[2:3], -v[16:17], v[28:29], 1.0
	v_fmac_f64_e32 v[28:29], v[28:29], v[2:3]
	v_fma_f64 v[2:3], -v[16:17], v[28:29], 1.0
	v_fmac_f64_e32 v[28:29], v[28:29], v[2:3]
	v_div_scale_f64 v[2:3], vcc, 1.0, v[8:9], 1.0
	v_mul_f64 v[10:11], v[2:3], v[28:29]
	v_fma_f64 v[2:3], -v[16:17], v[10:11], v[2:3]
	s_nop 1
	v_div_fmas_f64 v[2:3], v[2:3], v[28:29], v[10:11]
	v_div_fixup_f64 v[8:9], v[2:3], v[8:9], 1.0
	v_mul_f64 v[2:3], v[4:5], v[14:15]
	v_fmac_f64_e32 v[2:3], v[6:7], v[12:13]
	v_mul_f64 v[6:7], v[14:15], -v[6:7]
	v_fmac_f64_e32 v[6:7], v[4:5], v[12:13]
	v_mul_f64 v[2:3], v[2:3], v[8:9]
	v_mul_f64 v[4:5], v[6:7], v[8:9]
.LBB71_37:
	s_or_b64 exec, exec, s[4:5]
	ds_write_b128 v1, v[2:5] offset:24624
.LBB71_38:
	s_or_b64 exec, exec, s[6:7]
	s_waitcnt lgkmcnt(0)
	s_barrier
	s_and_saveexec_b64 s[4:5], s[2:3]
	s_cbranch_execz .LBB71_44
; %bb.39:
	v_lshlrev_b32_e32 v1, 2, v0
	v_mov_b32_e32 v2, 0x8000
	v_cmp_ne_u32_e32 vcc, 0, v0
	v_lshl_or_b32 v6, v0, 6, v2
	v_lshlrev_b32_e32 v1, 4, v1
                                        ; implicit-def: $vgpr4_vgpr5
	s_and_saveexec_b64 s[2:3], vcc
	s_xor_b64 s[2:3], exec, s[2:3]
	s_cbranch_execz .LBB71_41
; %bb.40:
	ds_read_b128 v[2:5], v1 offset:24560
	ds_read_b128 v[8:11], v1 offset:16
	;; [unrolled: 1-line block ×6, first 2 shown]
	s_waitcnt lgkmcnt(4)
	v_mul_f64 v[6:7], v[4:5], -v[10:11]
	v_mul_f64 v[4:5], v[4:5], v[8:9]
	v_fmac_f64_e32 v[4:5], v[10:11], v[2:3]
	s_waitcnt lgkmcnt(1)
	v_mul_f64 v[10:11], v[30:31], v[30:31]
	v_fmac_f64_e32 v[6:7], v[8:9], v[2:3]
	v_fmac_f64_e32 v[10:11], v[28:29], v[28:29]
	v_add_f64 v[2:3], v[12:13], -v[6:7]
	v_div_scale_f64 v[12:13], s[6:7], v[10:11], v[10:11], 1.0
	v_add_f64 v[4:5], v[14:15], -v[4:5]
	v_rcp_f64_e32 v[14:15], v[12:13]
	s_waitcnt lgkmcnt(0)
	v_mul_f64 v[6:7], v[34:35], -v[26:27]
	v_fmac_f64_e32 v[6:7], v[24:25], v[32:33]
	v_add_f64 v[6:7], v[2:3], -v[6:7]
	v_fma_f64 v[2:3], -v[12:13], v[14:15], 1.0
	v_fmac_f64_e32 v[14:15], v[14:15], v[2:3]
	v_mul_f64 v[8:9], v[34:35], v[24:25]
	v_fma_f64 v[2:3], -v[12:13], v[14:15], 1.0
	v_fmac_f64_e32 v[8:9], v[26:27], v[32:33]
	v_fmac_f64_e32 v[14:15], v[14:15], v[2:3]
	v_div_scale_f64 v[2:3], vcc, 1.0, v[10:11], 1.0
	v_add_f64 v[4:5], v[4:5], -v[8:9]
	v_mul_f64 v[8:9], v[2:3], v[14:15]
	v_fma_f64 v[2:3], -v[12:13], v[8:9], v[2:3]
	s_nop 0
	v_div_fmas_f64 v[2:3], v[2:3], v[14:15], v[8:9]
	v_div_fixup_f64 v[8:9], v[2:3], v[10:11], 1.0
	v_mul_f64 v[2:3], v[30:31], v[4:5]
	v_fmac_f64_e32 v[2:3], v[6:7], v[28:29]
	v_mul_f64 v[6:7], v[30:31], -v[6:7]
	v_fmac_f64_e32 v[6:7], v[4:5], v[28:29]
	v_mul_f64 v[2:3], v[2:3], v[8:9]
	v_mul_f64 v[4:5], v[8:9], v[6:7]
                                        ; implicit-def: $vgpr6
.LBB71_41:
	s_andn2_saveexec_b64 s[2:3], s[2:3]
	s_cbranch_execz .LBB71_43
; %bb.42:
	ds_read_b128 v[2:5], v1 offset:24624
	ds_read_b128 v[8:11], v1 offset:16400
	;; [unrolled: 1-line block ×4, first 2 shown]
	s_waitcnt lgkmcnt(2)
	v_mul_f64 v[6:7], v[4:5], -v[10:11]
	v_mul_f64 v[4:5], v[4:5], v[8:9]
	v_fmac_f64_e32 v[6:7], v[8:9], v[2:3]
	s_waitcnt lgkmcnt(1)
	v_mul_f64 v[8:9], v[14:15], v[14:15]
	v_fmac_f64_e32 v[8:9], v[12:13], v[12:13]
	v_div_scale_f64 v[16:17], s[6:7], v[8:9], v[8:9], 1.0
	v_rcp_f64_e32 v[28:29], v[16:17]
	v_fmac_f64_e32 v[4:5], v[10:11], v[2:3]
	s_waitcnt lgkmcnt(0)
	v_add_f64 v[4:5], v[26:27], -v[4:5]
	v_add_f64 v[6:7], v[24:25], -v[6:7]
	v_fma_f64 v[2:3], -v[16:17], v[28:29], 1.0
	v_fmac_f64_e32 v[28:29], v[28:29], v[2:3]
	v_fma_f64 v[2:3], -v[16:17], v[28:29], 1.0
	v_fmac_f64_e32 v[28:29], v[28:29], v[2:3]
	v_div_scale_f64 v[2:3], vcc, 1.0, v[8:9], 1.0
	v_mul_f64 v[10:11], v[2:3], v[28:29]
	v_fma_f64 v[2:3], -v[16:17], v[10:11], v[2:3]
	s_nop 1
	v_div_fmas_f64 v[2:3], v[2:3], v[28:29], v[10:11]
	v_div_fixup_f64 v[8:9], v[2:3], v[8:9], 1.0
	v_mul_f64 v[2:3], v[4:5], v[14:15]
	v_fmac_f64_e32 v[2:3], v[6:7], v[12:13]
	v_mul_f64 v[6:7], v[14:15], -v[6:7]
	v_fmac_f64_e32 v[6:7], v[4:5], v[12:13]
	v_mul_f64 v[2:3], v[2:3], v[8:9]
	v_mul_f64 v[4:5], v[6:7], v[8:9]
.LBB71_43:
	s_or_b64 exec, exec, s[2:3]
	ds_write_b128 v1, v[2:5] offset:24592
.LBB71_44:
	s_or_b64 exec, exec, s[4:5]
	s_waitcnt lgkmcnt(0)
	s_barrier
	s_and_saveexec_b64 s[2:3], s[0:1]
	s_cbranch_execz .LBB71_50
; %bb.45:
	v_lshlrev_b32_e32 v1, 1, v0
	v_mov_b32_e32 v2, 0x8000
	v_cmp_ne_u32_e32 vcc, 0, v0
	v_lshl_or_b32 v5, v0, 5, v2
	v_lshlrev_b32_e32 v4, 4, v1
                                        ; implicit-def: $vgpr2_vgpr3
	s_and_saveexec_b64 s[0:1], vcc
	s_xor_b64 s[0:1], exec, s[0:1]
	s_cbranch_execz .LBB71_47
; %bb.46:
	ds_read_b128 v[0:3], v4 offset:24560
	ds_read_b128 v[6:9], v4
	ds_read_b128 v[10:13], v5
	ds_read_b128 v[14:17], v4 offset:16384
	ds_read_b128 v[24:27], v4 offset:8192
	ds_read_b128 v[28:31], v4 offset:24592
	s_waitcnt lgkmcnt(4)
	v_mul_f64 v[32:33], v[2:3], -v[8:9]
	v_fmac_f64_e32 v[32:33], v[6:7], v[0:1]
	v_mul_f64 v[2:3], v[2:3], v[6:7]
	v_fmac_f64_e32 v[2:3], v[8:9], v[0:1]
	s_waitcnt lgkmcnt(3)
	v_add_f64 v[0:1], v[10:11], -v[32:33]
	s_waitcnt lgkmcnt(1)
	v_mul_f64 v[10:11], v[26:27], v[26:27]
	v_fmac_f64_e32 v[10:11], v[24:25], v[24:25]
	v_add_f64 v[2:3], v[12:13], -v[2:3]
	s_waitcnt lgkmcnt(0)
	v_mul_f64 v[6:7], v[30:31], -v[16:17]
	v_div_scale_f64 v[12:13], s[4:5], v[10:11], v[10:11], 1.0
	v_fmac_f64_e32 v[6:7], v[14:15], v[28:29]
	v_mul_f64 v[8:9], v[30:31], v[14:15]
	v_rcp_f64_e32 v[14:15], v[12:13]
	v_add_f64 v[6:7], v[0:1], -v[6:7]
	v_fmac_f64_e32 v[8:9], v[16:17], v[28:29]
	v_add_f64 v[2:3], v[2:3], -v[8:9]
	v_fma_f64 v[0:1], -v[12:13], v[14:15], 1.0
	v_fmac_f64_e32 v[14:15], v[14:15], v[0:1]
	v_fma_f64 v[0:1], -v[12:13], v[14:15], 1.0
	v_fmac_f64_e32 v[14:15], v[14:15], v[0:1]
	v_div_scale_f64 v[0:1], vcc, 1.0, v[10:11], 1.0
	v_mul_f64 v[8:9], v[0:1], v[14:15]
	v_fma_f64 v[0:1], -v[12:13], v[8:9], v[0:1]
                                        ; implicit-def: $vgpr5
	s_nop 1
	v_div_fmas_f64 v[0:1], v[0:1], v[14:15], v[8:9]
	v_div_fixup_f64 v[8:9], v[0:1], v[10:11], 1.0
	v_mul_f64 v[0:1], v[26:27], v[2:3]
	v_fmac_f64_e32 v[0:1], v[6:7], v[24:25]
	v_mul_f64 v[6:7], v[26:27], -v[6:7]
	v_fmac_f64_e32 v[6:7], v[2:3], v[24:25]
	v_mul_f64 v[0:1], v[0:1], v[8:9]
	v_mul_f64 v[2:3], v[8:9], v[6:7]
.LBB71_47:
	s_andn2_saveexec_b64 s[0:1], s[0:1]
	s_cbranch_execz .LBB71_49
; %bb.48:
	ds_read_b128 v[0:3], v4 offset:24592
	ds_read_b128 v[6:9], v4 offset:16384
	;; [unrolled: 1-line block ×3, first 2 shown]
	ds_read_b128 v[14:17], v5
	s_waitcnt lgkmcnt(2)
	v_mul_f64 v[24:25], v[2:3], -v[8:9]
	v_mul_f64 v[2:3], v[2:3], v[6:7]
	v_fmac_f64_e32 v[24:25], v[6:7], v[0:1]
	s_waitcnt lgkmcnt(1)
	v_mul_f64 v[6:7], v[12:13], v[12:13]
	v_fmac_f64_e32 v[6:7], v[10:11], v[10:11]
	v_div_scale_f64 v[26:27], s[4:5], v[6:7], v[6:7], 1.0
	v_rcp_f64_e32 v[28:29], v[26:27]
	v_fmac_f64_e32 v[2:3], v[8:9], v[0:1]
	s_waitcnt lgkmcnt(0)
	v_add_f64 v[8:9], v[14:15], -v[24:25]
	v_add_f64 v[2:3], v[16:17], -v[2:3]
	v_fma_f64 v[0:1], -v[26:27], v[28:29], 1.0
	v_fmac_f64_e32 v[28:29], v[28:29], v[0:1]
	v_fma_f64 v[0:1], -v[26:27], v[28:29], 1.0
	v_fmac_f64_e32 v[28:29], v[28:29], v[0:1]
	v_div_scale_f64 v[0:1], vcc, 1.0, v[6:7], 1.0
	v_mul_f64 v[14:15], v[0:1], v[28:29]
	v_fma_f64 v[0:1], -v[26:27], v[14:15], v[0:1]
	s_nop 1
	v_div_fmas_f64 v[0:1], v[0:1], v[28:29], v[14:15]
	v_div_fixup_f64 v[6:7], v[0:1], v[6:7], 1.0
	v_mul_f64 v[0:1], v[2:3], v[12:13]
	v_fmac_f64_e32 v[0:1], v[8:9], v[10:11]
	v_mul_f64 v[8:9], v[12:13], -v[8:9]
	v_fmac_f64_e32 v[8:9], v[2:3], v[10:11]
	v_mul_f64 v[0:1], v[0:1], v[6:7]
	v_mul_f64 v[2:3], v[8:9], v[6:7]
.LBB71_49:
	s_or_b64 exec, exec, s[0:1]
	ds_write_b128 v4, v[0:3] offset:24576
.LBB71_50:
	s_or_b64 exec, exec, s[2:3]
	v_or_b32_e32 v0, 0x6000, v22
	v_or_b32_e32 v4, 0x7000, v22
	s_waitcnt lgkmcnt(0)
	s_barrier
	ds_read2_b64 v[0:3], v0 offset1:1
	ds_read2_b64 v[4:7], v4 offset1:1
	s_waitcnt lgkmcnt(1)
	global_store_dwordx4 v[18:19], v[0:3], off
	s_waitcnt lgkmcnt(0)
	global_store_dwordx4 v[20:21], v[4:7], off
	s_endpgm
	.section	.rodata,"a",@progbits
	.p2align	6, 0x0
	.amdhsa_kernel _ZN9rocsparseL51gtsv_nopivot_strided_batch_crpcr_pow2_shared_kernelILj256ELj64E21rocsparse_complex_numIdEEEviiiPKT1_S5_S5_PS3_
		.amdhsa_group_segment_fixed_size 46080
		.amdhsa_private_segment_fixed_size 0
		.amdhsa_kernarg_size 48
		.amdhsa_user_sgpr_count 2
		.amdhsa_user_sgpr_dispatch_ptr 0
		.amdhsa_user_sgpr_queue_ptr 0
		.amdhsa_user_sgpr_kernarg_segment_ptr 1
		.amdhsa_user_sgpr_dispatch_id 0
		.amdhsa_user_sgpr_kernarg_preload_length 0
		.amdhsa_user_sgpr_kernarg_preload_offset 0
		.amdhsa_user_sgpr_private_segment_size 0
		.amdhsa_uses_dynamic_stack 0
		.amdhsa_enable_private_segment 0
		.amdhsa_system_sgpr_workgroup_id_x 1
		.amdhsa_system_sgpr_workgroup_id_y 0
		.amdhsa_system_sgpr_workgroup_id_z 0
		.amdhsa_system_sgpr_workgroup_info 0
		.amdhsa_system_vgpr_workitem_id 0
		.amdhsa_next_free_vgpr 129
		.amdhsa_next_free_sgpr 96
		.amdhsa_accum_offset 52
		.amdhsa_reserve_vcc 1
		.amdhsa_float_round_mode_32 0
		.amdhsa_float_round_mode_16_64 0
		.amdhsa_float_denorm_mode_32 3
		.amdhsa_float_denorm_mode_16_64 3
		.amdhsa_dx10_clamp 1
		.amdhsa_ieee_mode 1
		.amdhsa_fp16_overflow 0
		.amdhsa_tg_split 0
		.amdhsa_exception_fp_ieee_invalid_op 0
		.amdhsa_exception_fp_denorm_src 0
		.amdhsa_exception_fp_ieee_div_zero 0
		.amdhsa_exception_fp_ieee_overflow 0
		.amdhsa_exception_fp_ieee_underflow 0
		.amdhsa_exception_fp_ieee_inexact 0
		.amdhsa_exception_int_div_zero 0
	.end_amdhsa_kernel
	.section	.text._ZN9rocsparseL51gtsv_nopivot_strided_batch_crpcr_pow2_shared_kernelILj256ELj64E21rocsparse_complex_numIdEEEviiiPKT1_S5_S5_PS3_,"axG",@progbits,_ZN9rocsparseL51gtsv_nopivot_strided_batch_crpcr_pow2_shared_kernelILj256ELj64E21rocsparse_complex_numIdEEEviiiPKT1_S5_S5_PS3_,comdat
.Lfunc_end71:
	.size	_ZN9rocsparseL51gtsv_nopivot_strided_batch_crpcr_pow2_shared_kernelILj256ELj64E21rocsparse_complex_numIdEEEviiiPKT1_S5_S5_PS3_, .Lfunc_end71-_ZN9rocsparseL51gtsv_nopivot_strided_batch_crpcr_pow2_shared_kernelILj256ELj64E21rocsparse_complex_numIdEEEviiiPKT1_S5_S5_PS3_
                                        ; -- End function
	.set _ZN9rocsparseL51gtsv_nopivot_strided_batch_crpcr_pow2_shared_kernelILj256ELj64E21rocsparse_complex_numIdEEEviiiPKT1_S5_S5_PS3_.num_vgpr, 49
	.set _ZN9rocsparseL51gtsv_nopivot_strided_batch_crpcr_pow2_shared_kernelILj256ELj64E21rocsparse_complex_numIdEEEviiiPKT1_S5_S5_PS3_.num_agpr, 0
	.set _ZN9rocsparseL51gtsv_nopivot_strided_batch_crpcr_pow2_shared_kernelILj256ELj64E21rocsparse_complex_numIdEEEviiiPKT1_S5_S5_PS3_.numbered_sgpr, 12
	.set _ZN9rocsparseL51gtsv_nopivot_strided_batch_crpcr_pow2_shared_kernelILj256ELj64E21rocsparse_complex_numIdEEEviiiPKT1_S5_S5_PS3_.num_named_barrier, 0
	.set _ZN9rocsparseL51gtsv_nopivot_strided_batch_crpcr_pow2_shared_kernelILj256ELj64E21rocsparse_complex_numIdEEEviiiPKT1_S5_S5_PS3_.private_seg_size, 0
	.set _ZN9rocsparseL51gtsv_nopivot_strided_batch_crpcr_pow2_shared_kernelILj256ELj64E21rocsparse_complex_numIdEEEviiiPKT1_S5_S5_PS3_.uses_vcc, 1
	.set _ZN9rocsparseL51gtsv_nopivot_strided_batch_crpcr_pow2_shared_kernelILj256ELj64E21rocsparse_complex_numIdEEEviiiPKT1_S5_S5_PS3_.uses_flat_scratch, 0
	.set _ZN9rocsparseL51gtsv_nopivot_strided_batch_crpcr_pow2_shared_kernelILj256ELj64E21rocsparse_complex_numIdEEEviiiPKT1_S5_S5_PS3_.has_dyn_sized_stack, 0
	.set _ZN9rocsparseL51gtsv_nopivot_strided_batch_crpcr_pow2_shared_kernelILj256ELj64E21rocsparse_complex_numIdEEEviiiPKT1_S5_S5_PS3_.has_recursion, 0
	.set _ZN9rocsparseL51gtsv_nopivot_strided_batch_crpcr_pow2_shared_kernelILj256ELj64E21rocsparse_complex_numIdEEEviiiPKT1_S5_S5_PS3_.has_indirect_call, 0
	.section	.AMDGPU.csdata,"",@progbits
; Kernel info:
; codeLenInByte = 8404
; TotalNumSgprs: 18
; NumVgprs: 49
; NumAgprs: 0
; TotalNumVgprs: 49
; ScratchSize: 0
; MemoryBound: 0
; FloatMode: 240
; IeeeMode: 1
; LDSByteSize: 46080 bytes/workgroup (compile time only)
; SGPRBlocks: 12
; VGPRBlocks: 16
; NumSGPRsForWavesPerEU: 102
; NumVGPRsForWavesPerEU: 129
; AccumOffset: 52
; Occupancy: 3
; WaveLimiterHint : 0
; COMPUTE_PGM_RSRC2:SCRATCH_EN: 0
; COMPUTE_PGM_RSRC2:USER_SGPR: 2
; COMPUTE_PGM_RSRC2:TRAP_HANDLER: 0
; COMPUTE_PGM_RSRC2:TGID_X_EN: 1
; COMPUTE_PGM_RSRC2:TGID_Y_EN: 0
; COMPUTE_PGM_RSRC2:TGID_Z_EN: 0
; COMPUTE_PGM_RSRC2:TIDIG_COMP_CNT: 0
; COMPUTE_PGM_RSRC3_GFX90A:ACCUM_OFFSET: 12
; COMPUTE_PGM_RSRC3_GFX90A:TG_SPLIT: 0
	.section	.text._ZN9rocsparseL44gtsv_nopivot_strided_batch_pcr_shared_kernelILj4E21rocsparse_complex_numIdEEEviiiPKT0_S5_S5_PS3_,"axG",@progbits,_ZN9rocsparseL44gtsv_nopivot_strided_batch_pcr_shared_kernelILj4E21rocsparse_complex_numIdEEEviiiPKT0_S5_S5_PS3_,comdat
	.globl	_ZN9rocsparseL44gtsv_nopivot_strided_batch_pcr_shared_kernelILj4E21rocsparse_complex_numIdEEEviiiPKT0_S5_S5_PS3_ ; -- Begin function _ZN9rocsparseL44gtsv_nopivot_strided_batch_pcr_shared_kernelILj4E21rocsparse_complex_numIdEEEviiiPKT0_S5_S5_PS3_
	.p2align	8
	.type	_ZN9rocsparseL44gtsv_nopivot_strided_batch_pcr_shared_kernelILj4E21rocsparse_complex_numIdEEEviiiPKT0_S5_S5_PS3_,@function
_ZN9rocsparseL44gtsv_nopivot_strided_batch_pcr_shared_kernelILj4E21rocsparse_complex_numIdEEEviiiPKT0_S5_S5_PS3_: ; @_ZN9rocsparseL44gtsv_nopivot_strided_batch_pcr_shared_kernelILj4E21rocsparse_complex_numIdEEEviiiPKT0_S5_S5_PS3_
; %bb.0:
	s_load_dword s3, s[0:1], 0x8
	s_load_dword s8, s[0:1], 0x0
	v_mov_b64_e32 v[2:3], 0
	v_mov_b64_e32 v[8:9], 0
	;; [unrolled: 1-line block ×3, first 2 shown]
	s_waitcnt lgkmcnt(0)
	s_mul_i32 s4, s3, s2
	v_add_u32_e32 v6, s4, v0
	v_cmp_gt_i32_e64 s[2:3], s8, v0
	v_ashrrev_i32_e32 v7, 31, v6
	s_and_saveexec_b64 s[4:5], s[2:3]
	s_cbranch_execz .LBB72_2
; %bb.1:
	s_load_dwordx2 s[6:7], s[0:1], 0x10
	s_waitcnt lgkmcnt(0)
	v_lshl_add_u64 v[4:5], v[6:7], 4, s[6:7]
	global_load_dwordx4 v[8:11], v[4:5], off
.LBB72_2:
	s_or_b64 exec, exec, s[4:5]
	v_lshlrev_b32_e32 v1, 4, v0
	v_mov_b64_e32 v[4:5], 0
	s_waitcnt vmcnt(0)
	ds_write_b128 v1, v[8:11]
	s_and_saveexec_b64 s[4:5], s[2:3]
	s_cbranch_execz .LBB72_4
; %bb.3:
	s_load_dwordx2 s[6:7], s[0:1], 0x18
	s_waitcnt lgkmcnt(0)
	v_lshl_add_u64 v[2:3], v[6:7], 4, s[6:7]
	global_load_dwordx4 v[2:5], v[2:3], off
.LBB72_4:
	s_or_b64 exec, exec, s[4:5]
	s_load_dwordx2 s[4:5], s[0:1], 0x28
	s_waitcnt vmcnt(0)
	ds_write_b128 v1, v[2:5] offset:64
	v_mov_b64_e32 v[2:3], 0
	v_mov_b64_e32 v[10:11], 0
	;; [unrolled: 1-line block ×3, first 2 shown]
	s_and_saveexec_b64 s[6:7], s[2:3]
	s_cbranch_execz .LBB72_6
; %bb.5:
	s_load_dwordx2 s[0:1], s[0:1], 0x20
	s_waitcnt lgkmcnt(0)
	v_lshl_add_u64 v[4:5], v[6:7], 4, s[0:1]
	global_load_dwordx4 v[10:13], v[4:5], off
.LBB72_6:
	s_or_b64 exec, exec, s[6:7]
	v_or_b32_e32 v9, 64, v1
	v_or_b32_e32 v8, 0x80, v1
	v_mov_b64_e32 v[4:5], 0
	s_waitcnt vmcnt(0)
	ds_write_b128 v1, v[10:13] offset:128
	s_and_saveexec_b64 s[0:1], s[2:3]
	s_cbranch_execz .LBB72_8
; %bb.7:
	s_waitcnt lgkmcnt(0)
	v_lshl_add_u64 v[2:3], v[6:7], 4, s[4:5]
	global_load_dwordx4 v[2:5], v[2:3], off
.LBB72_8:
	s_or_b64 exec, exec, s[0:1]
	s_waitcnt vmcnt(0)
	ds_write_b128 v1, v[2:5] offset:256
	v_sub_u32_e64 v2, v0, 1 clamp
	v_lshlrev_b32_e32 v42, 4, v2
	s_waitcnt lgkmcnt(0)
	; wave barrier
	ds_read_b128 v[2:5], v42 offset:64
	ds_read_b128 v[10:13], v42
	s_add_i32 s6, s8, -1
	v_add_u32_e32 v14, 1, v0
	v_min_i32_e32 v28, s6, v14
	s_waitcnt lgkmcnt(1)
	v_mul_f64 v[18:19], v[4:5], v[4:5]
	v_fmac_f64_e32 v[18:19], v[2:3], v[2:3]
	v_div_scale_f64 v[20:21], s[0:1], v[18:19], v[18:19], 1.0
	v_rcp_f64_e32 v[22:23], v[20:21]
	ds_read_b128 v[14:17], v1
	v_lshlrev_b32_e32 v43, 4, v28
	v_fma_f64 v[24:25], -v[20:21], v[22:23], 1.0
	v_fmac_f64_e32 v[22:23], v[22:23], v[24:25]
	v_fma_f64 v[24:25], -v[20:21], v[22:23], 1.0
	v_fmac_f64_e32 v[22:23], v[22:23], v[24:25]
	v_div_scale_f64 v[24:25], vcc, 1.0, v[18:19], 1.0
	v_mul_f64 v[26:27], v[24:25], v[22:23]
	v_fma_f64 v[20:21], -v[20:21], v[26:27], v[24:25]
	s_nop 1
	v_div_fmas_f64 v[20:21], v[20:21], v[22:23], v[26:27]
	ds_read_b128 v[22:25], v43 offset:64
	v_div_fixup_f64 v[30:31], v[20:21], v[18:19], 1.0
	ds_read_b128 v[18:21], v1 offset:256
	s_waitcnt lgkmcnt(2)
	v_mul_f64 v[26:27], v[4:5], v[16:17]
	v_fmac_f64_e32 v[26:27], v[14:15], v[2:3]
	v_mul_f64 v[34:35], v[30:31], v[26:27]
	v_mul_f64 v[4:5], v[4:5], -v[14:15]
	ds_read_b128 v[26:29], v43
	s_waitcnt lgkmcnt(2)
	v_mul_f64 v[14:15], v[24:25], v[24:25]
	v_fmac_f64_e32 v[14:15], v[22:23], v[22:23]
	v_div_scale_f64 v[32:33], s[0:1], v[14:15], v[14:15], 1.0
	v_rcp_f64_e32 v[36:37], v[32:33]
	v_fmac_f64_e32 v[4:5], v[16:17], v[2:3]
	v_mul_f64 v[38:39], v[30:31], v[4:5]
	ds_read_b128 v[2:5], v8
	v_fma_f64 v[16:17], -v[32:33], v[36:37], 1.0
	v_fmac_f64_e32 v[36:37], v[36:37], v[16:17]
	v_fma_f64 v[16:17], -v[32:33], v[36:37], 1.0
	v_fmac_f64_e32 v[36:37], v[36:37], v[16:17]
	v_div_scale_f64 v[16:17], vcc, 1.0, v[14:15], 1.0
	v_mul_f64 v[30:31], v[16:17], v[36:37]
	v_fma_f64 v[16:17], -v[32:33], v[30:31], v[16:17]
	s_nop 1
	v_div_fmas_f64 v[16:17], v[16:17], v[36:37], v[30:31]
	v_div_fixup_f64 v[36:37], v[16:17], v[14:15], 1.0
	ds_read_b128 v[14:17], v9
	s_waitcnt lgkmcnt(1)
	v_mul_f64 v[30:31], v[24:25], v[4:5]
	v_fmac_f64_e32 v[30:31], v[2:3], v[22:23]
	v_mul_f64 v[40:41], v[36:37], v[30:31]
	ds_read_b128 v[30:33], v42 offset:128
	v_mul_f64 v[2:3], v[24:25], -v[2:3]
	v_fmac_f64_e32 v[2:3], v[4:5], v[22:23]
	v_mul_f64 v[36:37], v[36:37], v[2:3]
	ds_read_b128 v[2:5], v42 offset:256
	s_waitcnt lgkmcnt(1)
	v_mul_f64 v[22:23], v[38:39], -v[32:33]
	v_mul_f64 v[24:25], v[38:39], v[30:31]
	v_fmac_f64_e32 v[22:23], v[30:31], v[34:35]
	v_fmac_f64_e32 v[24:25], v[32:33], v[34:35]
	v_add_f64 v[14:15], v[14:15], -v[22:23]
	v_add_f64 v[16:17], v[16:17], -v[24:25]
	v_mul_f64 v[22:23], v[36:37], -v[28:29]
	v_mul_f64 v[24:25], v[36:37], v[26:27]
	v_fmac_f64_e32 v[22:23], v[26:27], v[40:41]
	v_fmac_f64_e32 v[24:25], v[28:29], v[40:41]
	v_add_f64 v[14:15], v[14:15], -v[22:23]
	v_add_f64 v[16:17], v[16:17], -v[24:25]
	ds_read_b128 v[22:25], v43 offset:256
	s_waitcnt lgkmcnt(1)
	v_mul_f64 v[26:27], v[38:39], -v[4:5]
	v_fmac_f64_e32 v[26:27], v[2:3], v[34:35]
	v_mul_f64 v[2:3], v[38:39], v[2:3]
	v_fmac_f64_e32 v[2:3], v[4:5], v[34:35]
	v_add_f64 v[18:19], v[18:19], -v[26:27]
	v_add_f64 v[20:21], v[20:21], -v[2:3]
	ds_read_b128 v[2:5], v43 offset:128
	s_waitcnt lgkmcnt(1)
	v_mul_f64 v[26:27], v[36:37], -v[24:25]
	v_fmac_f64_e32 v[26:27], v[22:23], v[40:41]
	v_mul_f64 v[22:23], v[36:37], v[22:23]
	v_fmac_f64_e32 v[22:23], v[24:25], v[40:41]
	v_add_f64 v[20:21], v[20:21], -v[22:23]
	v_mul_f64 v[22:23], v[38:39], v[12:13]
	v_fma_f64 v[22:23], -v[10:11], v[34:35], v[22:23]
	v_mul_f64 v[10:11], v[38:39], -v[10:11]
	v_fma_f64 v[24:25], -v[12:13], v[34:35], v[10:11]
	s_waitcnt lgkmcnt(0)
	v_mul_f64 v[10:11], v[36:37], v[4:5]
	v_fma_f64 v[10:11], -v[2:3], v[40:41], v[10:11]
	v_mul_f64 v[2:3], v[36:37], -v[2:3]
	v_cmp_gt_u32_e32 vcc, 2, v0
	v_add_f64 v[18:19], v[18:19], -v[26:27]
	v_fma_f64 v[12:13], -v[4:5], v[40:41], v[2:3]
	; wave barrier
	ds_write_b128 v9, v[14:17]
	ds_write_b128 v1, v[18:21] offset:256
	ds_write_b128 v1, v[22:25]
	ds_write_b128 v8, v[10:13]
	s_waitcnt lgkmcnt(0)
	; wave barrier
	s_and_saveexec_b64 s[0:1], vcc
	s_cbranch_execz .LBB72_14
; %bb.9:
	v_or_b32_e32 v10, 2, v0
	v_or_b32_e32 v11, 0x100, v1
	v_cmp_le_i32_e32 vcc, s8, v10
                                        ; implicit-def: $vgpr4_vgpr5
	s_and_saveexec_b64 s[6:7], vcc
	s_xor_b64 s[6:7], exec, s[6:7]
	s_cbranch_execz .LBB72_11
; %bb.10:
	ds_read_b128 v[12:15], v9
	ds_read_b128 v[8:11], v11
	s_waitcnt lgkmcnt(1)
	v_mul_f64 v[2:3], v[14:15], v[14:15]
	v_fmac_f64_e32 v[2:3], v[12:13], v[12:13]
	v_div_scale_f64 v[16:17], s[8:9], v[2:3], v[2:3], 1.0
	v_rcp_f64_e32 v[18:19], v[16:17]
	v_div_scale_f64 v[20:21], vcc, 1.0, v[2:3], 1.0
	s_waitcnt lgkmcnt(0)
	v_mul_f64 v[4:5], v[14:15], v[10:11]
	v_fma_f64 v[22:23], -v[16:17], v[18:19], 1.0
	v_fmac_f64_e32 v[18:19], v[18:19], v[22:23]
	v_fma_f64 v[22:23], -v[16:17], v[18:19], 1.0
	v_fmac_f64_e32 v[18:19], v[18:19], v[22:23]
	v_mul_f64 v[22:23], v[20:21], v[18:19]
	v_fma_f64 v[16:17], -v[16:17], v[22:23], v[20:21]
	v_div_fmas_f64 v[16:17], v[16:17], v[18:19], v[22:23]
	v_fmac_f64_e32 v[4:5], v[8:9], v[12:13]
	v_div_fixup_f64 v[16:17], v[16:17], v[2:3], 1.0
	v_mul_f64 v[2:3], v[16:17], v[4:5]
	v_mul_f64 v[4:5], v[14:15], -v[8:9]
	v_fmac_f64_e32 v[4:5], v[10:11], v[12:13]
	v_mul_f64 v[4:5], v[16:17], v[4:5]
                                        ; implicit-def: $vgpr9
                                        ; implicit-def: $vgpr8
                                        ; implicit-def: $vgpr11
                                        ; implicit-def: $vgpr10
.LBB72_11:
	s_andn2_saveexec_b64 s[6:7], s[6:7]
	s_cbranch_execz .LBB72_13
; %bb.12:
	ds_read_b128 v[2:5], v9 offset:32
	ds_read_b128 v[12:15], v9
	ds_read_b128 v[16:19], v1 offset:32
	ds_read_b128 v[20:23], v8
	v_mov_b32_e32 v0, v10
	s_waitcnt lgkmcnt(2)
	v_mul_f64 v[24:25], v[14:15], v[2:3]
	v_mul_f64 v[8:9], v[14:15], -v[4:5]
	s_waitcnt lgkmcnt(0)
	v_mul_f64 v[28:29], v[18:19], v[20:21]
	v_fmac_f64_e32 v[24:25], v[4:5], v[12:13]
	v_mul_f64 v[26:27], v[18:19], -v[22:23]
	v_fmac_f64_e32 v[28:29], v[22:23], v[16:17]
	v_fmac_f64_e32 v[8:9], v[2:3], v[12:13]
	;; [unrolled: 1-line block ×3, first 2 shown]
	v_add_f64 v[28:29], v[24:25], -v[28:29]
	v_add_f64 v[8:9], v[8:9], -v[26:27]
	v_mul_f64 v[24:25], v[28:29], v[28:29]
	v_fmac_f64_e32 v[24:25], v[8:9], v[8:9]
	v_div_scale_f64 v[26:27], s[8:9], v[24:25], v[24:25], 1.0
	v_rcp_f64_e32 v[30:31], v[26:27]
	s_nop 0
	v_fma_f64 v[32:33], -v[26:27], v[30:31], 1.0
	v_fmac_f64_e32 v[30:31], v[30:31], v[32:33]
	v_fma_f64 v[32:33], -v[26:27], v[30:31], 1.0
	v_fmac_f64_e32 v[30:31], v[30:31], v[32:33]
	v_div_scale_f64 v[32:33], vcc, 1.0, v[24:25], 1.0
	v_mul_f64 v[34:35], v[32:33], v[30:31]
	v_fma_f64 v[26:27], -v[26:27], v[34:35], v[32:33]
	v_fma_f64 v[32:33], 0, v[28:29], v[8:9]
	s_nop 0
	v_div_fmas_f64 v[26:27], v[26:27], v[30:31], v[34:35]
	v_div_fixup_f64 v[30:31], v[26:27], v[24:25], 1.0
	ds_read_b128 v[24:27], v11
	v_fma_f64 v[8:9], v[8:9], 0, -v[28:29]
	v_mul_f64 v[32:33], v[32:33], v[30:31]
	v_mul_f64 v[8:9], v[8:9], v[30:31]
	ds_read_b128 v[28:31], v11 offset:32
	s_waitcnt lgkmcnt(1)
	v_mul_f64 v[34:35], v[26:27], -v[4:5]
	v_fmac_f64_e32 v[34:35], v[2:3], v[24:25]
	v_mul_f64 v[2:3], v[2:3], v[26:27]
	v_fmac_f64_e32 v[2:3], v[4:5], v[24:25]
	s_waitcnt lgkmcnt(0)
	v_mul_f64 v[4:5], v[30:31], -v[22:23]
	v_fmac_f64_e32 v[4:5], v[20:21], v[28:29]
	v_mul_f64 v[20:21], v[20:21], v[30:31]
	v_fmac_f64_e32 v[20:21], v[22:23], v[28:29]
	v_add_f64 v[20:21], v[2:3], -v[20:21]
	v_add_f64 v[4:5], v[34:35], -v[4:5]
	v_mul_f64 v[2:3], v[8:9], -v[20:21]
	v_fmac_f64_e32 v[2:3], v[4:5], v[32:33]
	v_mul_f64 v[4:5], v[8:9], v[4:5]
	v_fmac_f64_e32 v[4:5], v[20:21], v[32:33]
	ds_write_b128 v1, v[2:5] offset:192
	v_mul_f64 v[2:3], v[14:15], -v[30:31]
	v_mul_f64 v[4:5], v[14:15], v[28:29]
	v_fmac_f64_e32 v[2:3], v[28:29], v[12:13]
	v_fmac_f64_e32 v[4:5], v[30:31], v[12:13]
	v_mul_f64 v[12:13], v[18:19], -v[26:27]
	v_mul_f64 v[14:15], v[18:19], v[24:25]
	v_fmac_f64_e32 v[12:13], v[24:25], v[16:17]
	v_fmac_f64_e32 v[14:15], v[26:27], v[16:17]
	v_add_f64 v[12:13], v[2:3], -v[12:13]
	v_add_f64 v[14:15], v[4:5], -v[14:15]
	v_mul_f64 v[2:3], v[8:9], -v[14:15]
	v_mul_f64 v[4:5], v[8:9], v[12:13]
	v_fmac_f64_e32 v[2:3], v[12:13], v[32:33]
	v_fmac_f64_e32 v[4:5], v[14:15], v[32:33]
.LBB72_13:
	s_or_b64 exec, exec, s[6:7]
	v_lshlrev_b32_e32 v0, 4, v0
	ds_write_b128 v0, v[2:5] offset:192
.LBB72_14:
	s_or_b64 exec, exec, s[0:1]
	s_waitcnt lgkmcnt(0)
	; wave barrier
	s_and_saveexec_b64 s[0:1], s[2:3]
	s_cbranch_execz .LBB72_16
; %bb.15:
	ds_read2_b64 v[0:3], v1 offset0:24 offset1:25
	v_lshl_add_u64 v[4:5], v[6:7], 4, s[4:5]
	s_waitcnt lgkmcnt(0)
	global_store_dwordx4 v[4:5], v[0:3], off
.LBB72_16:
	s_endpgm
	.section	.rodata,"a",@progbits
	.p2align	6, 0x0
	.amdhsa_kernel _ZN9rocsparseL44gtsv_nopivot_strided_batch_pcr_shared_kernelILj4E21rocsparse_complex_numIdEEEviiiPKT0_S5_S5_PS3_
		.amdhsa_group_segment_fixed_size 320
		.amdhsa_private_segment_fixed_size 0
		.amdhsa_kernarg_size 48
		.amdhsa_user_sgpr_count 2
		.amdhsa_user_sgpr_dispatch_ptr 0
		.amdhsa_user_sgpr_queue_ptr 0
		.amdhsa_user_sgpr_kernarg_segment_ptr 1
		.amdhsa_user_sgpr_dispatch_id 0
		.amdhsa_user_sgpr_kernarg_preload_length 0
		.amdhsa_user_sgpr_kernarg_preload_offset 0
		.amdhsa_user_sgpr_private_segment_size 0
		.amdhsa_uses_dynamic_stack 0
		.amdhsa_enable_private_segment 0
		.amdhsa_system_sgpr_workgroup_id_x 1
		.amdhsa_system_sgpr_workgroup_id_y 0
		.amdhsa_system_sgpr_workgroup_id_z 0
		.amdhsa_system_sgpr_workgroup_info 0
		.amdhsa_system_vgpr_workitem_id 0
		.amdhsa_next_free_vgpr 44
		.amdhsa_next_free_sgpr 10
		.amdhsa_accum_offset 44
		.amdhsa_reserve_vcc 1
		.amdhsa_float_round_mode_32 0
		.amdhsa_float_round_mode_16_64 0
		.amdhsa_float_denorm_mode_32 3
		.amdhsa_float_denorm_mode_16_64 3
		.amdhsa_dx10_clamp 1
		.amdhsa_ieee_mode 1
		.amdhsa_fp16_overflow 0
		.amdhsa_tg_split 0
		.amdhsa_exception_fp_ieee_invalid_op 0
		.amdhsa_exception_fp_denorm_src 0
		.amdhsa_exception_fp_ieee_div_zero 0
		.amdhsa_exception_fp_ieee_overflow 0
		.amdhsa_exception_fp_ieee_underflow 0
		.amdhsa_exception_fp_ieee_inexact 0
		.amdhsa_exception_int_div_zero 0
	.end_amdhsa_kernel
	.section	.text._ZN9rocsparseL44gtsv_nopivot_strided_batch_pcr_shared_kernelILj4E21rocsparse_complex_numIdEEEviiiPKT0_S5_S5_PS3_,"axG",@progbits,_ZN9rocsparseL44gtsv_nopivot_strided_batch_pcr_shared_kernelILj4E21rocsparse_complex_numIdEEEviiiPKT0_S5_S5_PS3_,comdat
.Lfunc_end72:
	.size	_ZN9rocsparseL44gtsv_nopivot_strided_batch_pcr_shared_kernelILj4E21rocsparse_complex_numIdEEEviiiPKT0_S5_S5_PS3_, .Lfunc_end72-_ZN9rocsparseL44gtsv_nopivot_strided_batch_pcr_shared_kernelILj4E21rocsparse_complex_numIdEEEviiiPKT0_S5_S5_PS3_
                                        ; -- End function
	.set _ZN9rocsparseL44gtsv_nopivot_strided_batch_pcr_shared_kernelILj4E21rocsparse_complex_numIdEEEviiiPKT0_S5_S5_PS3_.num_vgpr, 44
	.set _ZN9rocsparseL44gtsv_nopivot_strided_batch_pcr_shared_kernelILj4E21rocsparse_complex_numIdEEEviiiPKT0_S5_S5_PS3_.num_agpr, 0
	.set _ZN9rocsparseL44gtsv_nopivot_strided_batch_pcr_shared_kernelILj4E21rocsparse_complex_numIdEEEviiiPKT0_S5_S5_PS3_.numbered_sgpr, 10
	.set _ZN9rocsparseL44gtsv_nopivot_strided_batch_pcr_shared_kernelILj4E21rocsparse_complex_numIdEEEviiiPKT0_S5_S5_PS3_.num_named_barrier, 0
	.set _ZN9rocsparseL44gtsv_nopivot_strided_batch_pcr_shared_kernelILj4E21rocsparse_complex_numIdEEEviiiPKT0_S5_S5_PS3_.private_seg_size, 0
	.set _ZN9rocsparseL44gtsv_nopivot_strided_batch_pcr_shared_kernelILj4E21rocsparse_complex_numIdEEEviiiPKT0_S5_S5_PS3_.uses_vcc, 1
	.set _ZN9rocsparseL44gtsv_nopivot_strided_batch_pcr_shared_kernelILj4E21rocsparse_complex_numIdEEEviiiPKT0_S5_S5_PS3_.uses_flat_scratch, 0
	.set _ZN9rocsparseL44gtsv_nopivot_strided_batch_pcr_shared_kernelILj4E21rocsparse_complex_numIdEEEviiiPKT0_S5_S5_PS3_.has_dyn_sized_stack, 0
	.set _ZN9rocsparseL44gtsv_nopivot_strided_batch_pcr_shared_kernelILj4E21rocsparse_complex_numIdEEEviiiPKT0_S5_S5_PS3_.has_recursion, 0
	.set _ZN9rocsparseL44gtsv_nopivot_strided_batch_pcr_shared_kernelILj4E21rocsparse_complex_numIdEEEviiiPKT0_S5_S5_PS3_.has_indirect_call, 0
	.section	.AMDGPU.csdata,"",@progbits
; Kernel info:
; codeLenInByte = 1688
; TotalNumSgprs: 16
; NumVgprs: 44
; NumAgprs: 0
; TotalNumVgprs: 44
; ScratchSize: 0
; MemoryBound: 1
; FloatMode: 240
; IeeeMode: 1
; LDSByteSize: 320 bytes/workgroup (compile time only)
; SGPRBlocks: 1
; VGPRBlocks: 5
; NumSGPRsForWavesPerEU: 16
; NumVGPRsForWavesPerEU: 44
; AccumOffset: 44
; Occupancy: 8
; WaveLimiterHint : 0
; COMPUTE_PGM_RSRC2:SCRATCH_EN: 0
; COMPUTE_PGM_RSRC2:USER_SGPR: 2
; COMPUTE_PGM_RSRC2:TRAP_HANDLER: 0
; COMPUTE_PGM_RSRC2:TGID_X_EN: 1
; COMPUTE_PGM_RSRC2:TGID_Y_EN: 0
; COMPUTE_PGM_RSRC2:TGID_Z_EN: 0
; COMPUTE_PGM_RSRC2:TIDIG_COMP_CNT: 0
; COMPUTE_PGM_RSRC3_GFX90A:ACCUM_OFFSET: 10
; COMPUTE_PGM_RSRC3_GFX90A:TG_SPLIT: 0
	.section	.text._ZN9rocsparseL44gtsv_nopivot_strided_batch_pcr_shared_kernelILj8E21rocsparse_complex_numIdEEEviiiPKT0_S5_S5_PS3_,"axG",@progbits,_ZN9rocsparseL44gtsv_nopivot_strided_batch_pcr_shared_kernelILj8E21rocsparse_complex_numIdEEEviiiPKT0_S5_S5_PS3_,comdat
	.globl	_ZN9rocsparseL44gtsv_nopivot_strided_batch_pcr_shared_kernelILj8E21rocsparse_complex_numIdEEEviiiPKT0_S5_S5_PS3_ ; -- Begin function _ZN9rocsparseL44gtsv_nopivot_strided_batch_pcr_shared_kernelILj8E21rocsparse_complex_numIdEEEviiiPKT0_S5_S5_PS3_
	.p2align	8
	.type	_ZN9rocsparseL44gtsv_nopivot_strided_batch_pcr_shared_kernelILj8E21rocsparse_complex_numIdEEEviiiPKT0_S5_S5_PS3_,@function
_ZN9rocsparseL44gtsv_nopivot_strided_batch_pcr_shared_kernelILj8E21rocsparse_complex_numIdEEEviiiPKT0_S5_S5_PS3_: ; @_ZN9rocsparseL44gtsv_nopivot_strided_batch_pcr_shared_kernelILj8E21rocsparse_complex_numIdEEEviiiPKT0_S5_S5_PS3_
; %bb.0:
	s_load_dword s3, s[0:1], 0x8
	s_load_dword s8, s[0:1], 0x0
	v_mov_b64_e32 v[2:3], 0
	v_mov_b64_e32 v[8:9], 0
	;; [unrolled: 1-line block ×3, first 2 shown]
	s_waitcnt lgkmcnt(0)
	s_mul_i32 s4, s3, s2
	v_add_u32_e32 v6, s4, v0
	v_cmp_gt_i32_e64 s[2:3], s8, v0
	v_ashrrev_i32_e32 v7, 31, v6
	s_and_saveexec_b64 s[4:5], s[2:3]
	s_cbranch_execz .LBB73_2
; %bb.1:
	s_load_dwordx2 s[6:7], s[0:1], 0x10
	s_waitcnt lgkmcnt(0)
	v_lshl_add_u64 v[4:5], v[6:7], 4, s[6:7]
	global_load_dwordx4 v[8:11], v[4:5], off
.LBB73_2:
	s_or_b64 exec, exec, s[4:5]
	v_lshlrev_b32_e32 v1, 4, v0
	v_mov_b64_e32 v[4:5], 0
	s_waitcnt vmcnt(0)
	ds_write_b128 v1, v[8:11]
	s_and_saveexec_b64 s[4:5], s[2:3]
	s_cbranch_execz .LBB73_4
; %bb.3:
	s_load_dwordx2 s[6:7], s[0:1], 0x18
	s_waitcnt lgkmcnt(0)
	v_lshl_add_u64 v[2:3], v[6:7], 4, s[6:7]
	global_load_dwordx4 v[2:5], v[2:3], off
.LBB73_4:
	s_or_b64 exec, exec, s[4:5]
	s_load_dwordx2 s[4:5], s[0:1], 0x28
	s_waitcnt vmcnt(0)
	ds_write_b128 v1, v[2:5] offset:128
	v_mov_b64_e32 v[2:3], 0
	v_mov_b64_e32 v[10:11], 0
	;; [unrolled: 1-line block ×3, first 2 shown]
	s_and_saveexec_b64 s[6:7], s[2:3]
	s_cbranch_execz .LBB73_6
; %bb.5:
	s_load_dwordx2 s[0:1], s[0:1], 0x20
	s_waitcnt lgkmcnt(0)
	v_lshl_add_u64 v[4:5], v[6:7], 4, s[0:1]
	global_load_dwordx4 v[10:13], v[4:5], off
.LBB73_6:
	s_or_b64 exec, exec, s[6:7]
	v_or_b32_e32 v9, 0x80, v1
	v_or_b32_e32 v8, 0x100, v1
	v_mov_b64_e32 v[4:5], 0
	s_waitcnt vmcnt(0)
	ds_write_b128 v1, v[10:13] offset:256
	s_and_saveexec_b64 s[0:1], s[2:3]
	s_cbranch_execz .LBB73_8
; %bb.7:
	s_waitcnt lgkmcnt(0)
	v_lshl_add_u64 v[2:3], v[6:7], 4, s[4:5]
	global_load_dwordx4 v[2:5], v[2:3], off
.LBB73_8:
	s_or_b64 exec, exec, s[0:1]
	s_waitcnt vmcnt(0)
	ds_write_b128 v1, v[2:5] offset:512
	v_sub_u32_e64 v2, v0, 1 clamp
	v_lshlrev_b32_e32 v42, 4, v2
	s_waitcnt lgkmcnt(0)
	; wave barrier
	ds_read_b128 v[2:5], v42 offset:128
	ds_read_b128 v[10:13], v42
	s_add_i32 s0, s8, -1
	v_add_u32_e32 v14, 1, v0
	v_min_i32_e32 v28, s0, v14
	s_waitcnt lgkmcnt(1)
	v_mul_f64 v[18:19], v[4:5], v[4:5]
	v_fmac_f64_e32 v[18:19], v[2:3], v[2:3]
	v_div_scale_f64 v[20:21], s[6:7], v[18:19], v[18:19], 1.0
	v_rcp_f64_e32 v[22:23], v[20:21]
	ds_read_b128 v[14:17], v1
	v_lshlrev_b32_e32 v43, 4, v28
	v_fma_f64 v[24:25], -v[20:21], v[22:23], 1.0
	v_fmac_f64_e32 v[22:23], v[22:23], v[24:25]
	v_fma_f64 v[24:25], -v[20:21], v[22:23], 1.0
	v_fmac_f64_e32 v[22:23], v[22:23], v[24:25]
	v_div_scale_f64 v[24:25], vcc, 1.0, v[18:19], 1.0
	v_mul_f64 v[26:27], v[24:25], v[22:23]
	v_fma_f64 v[20:21], -v[20:21], v[26:27], v[24:25]
	s_nop 1
	v_div_fmas_f64 v[20:21], v[20:21], v[22:23], v[26:27]
	ds_read_b128 v[22:25], v43 offset:128
	v_div_fixup_f64 v[30:31], v[20:21], v[18:19], 1.0
	ds_read_b128 v[18:21], v1 offset:512
	s_waitcnt lgkmcnt(2)
	v_mul_f64 v[26:27], v[4:5], v[16:17]
	v_fmac_f64_e32 v[26:27], v[14:15], v[2:3]
	v_mul_f64 v[34:35], v[30:31], v[26:27]
	v_mul_f64 v[4:5], v[4:5], -v[14:15]
	ds_read_b128 v[26:29], v43
	s_waitcnt lgkmcnt(2)
	v_mul_f64 v[14:15], v[24:25], v[24:25]
	v_fmac_f64_e32 v[14:15], v[22:23], v[22:23]
	v_div_scale_f64 v[32:33], s[6:7], v[14:15], v[14:15], 1.0
	v_rcp_f64_e32 v[36:37], v[32:33]
	v_fmac_f64_e32 v[4:5], v[16:17], v[2:3]
	v_mul_f64 v[38:39], v[30:31], v[4:5]
	ds_read_b128 v[2:5], v8
	v_fma_f64 v[16:17], -v[32:33], v[36:37], 1.0
	v_fmac_f64_e32 v[36:37], v[36:37], v[16:17]
	v_fma_f64 v[16:17], -v[32:33], v[36:37], 1.0
	v_fmac_f64_e32 v[36:37], v[36:37], v[16:17]
	v_div_scale_f64 v[16:17], vcc, 1.0, v[14:15], 1.0
	v_mul_f64 v[30:31], v[16:17], v[36:37]
	v_fma_f64 v[16:17], -v[32:33], v[30:31], v[16:17]
	s_nop 1
	v_div_fmas_f64 v[16:17], v[16:17], v[36:37], v[30:31]
	v_div_fixup_f64 v[36:37], v[16:17], v[14:15], 1.0
	ds_read_b128 v[14:17], v9
	s_waitcnt lgkmcnt(1)
	v_mul_f64 v[30:31], v[24:25], v[4:5]
	v_fmac_f64_e32 v[30:31], v[2:3], v[22:23]
	v_mul_f64 v[40:41], v[36:37], v[30:31]
	ds_read_b128 v[30:33], v42 offset:256
	v_mul_f64 v[2:3], v[24:25], -v[2:3]
	v_fmac_f64_e32 v[2:3], v[4:5], v[22:23]
	v_mul_f64 v[36:37], v[36:37], v[2:3]
	ds_read_b128 v[2:5], v42 offset:512
	s_waitcnt lgkmcnt(1)
	v_mul_f64 v[22:23], v[38:39], -v[32:33]
	v_mul_f64 v[24:25], v[38:39], v[30:31]
	v_fmac_f64_e32 v[22:23], v[30:31], v[34:35]
	v_fmac_f64_e32 v[24:25], v[32:33], v[34:35]
	v_add_f64 v[14:15], v[14:15], -v[22:23]
	v_add_f64 v[16:17], v[16:17], -v[24:25]
	v_mul_f64 v[22:23], v[36:37], -v[28:29]
	v_mul_f64 v[24:25], v[36:37], v[26:27]
	v_fmac_f64_e32 v[22:23], v[26:27], v[40:41]
	v_fmac_f64_e32 v[24:25], v[28:29], v[40:41]
	v_add_f64 v[14:15], v[14:15], -v[22:23]
	v_add_f64 v[16:17], v[16:17], -v[24:25]
	ds_read_b128 v[22:25], v43 offset:512
	s_waitcnt lgkmcnt(1)
	v_mul_f64 v[26:27], v[38:39], -v[4:5]
	v_fmac_f64_e32 v[26:27], v[2:3], v[34:35]
	v_mul_f64 v[2:3], v[38:39], v[2:3]
	v_fmac_f64_e32 v[2:3], v[4:5], v[34:35]
	v_add_f64 v[18:19], v[18:19], -v[26:27]
	v_add_f64 v[20:21], v[20:21], -v[2:3]
	ds_read_b128 v[2:5], v43 offset:256
	s_waitcnt lgkmcnt(1)
	v_mul_f64 v[26:27], v[36:37], -v[24:25]
	v_fmac_f64_e32 v[26:27], v[22:23], v[40:41]
	v_mul_f64 v[22:23], v[36:37], v[22:23]
	v_fmac_f64_e32 v[22:23], v[24:25], v[40:41]
	v_add_f64 v[20:21], v[20:21], -v[22:23]
	v_mul_f64 v[22:23], v[38:39], v[12:13]
	v_fma_f64 v[22:23], -v[10:11], v[34:35], v[22:23]
	v_mul_f64 v[10:11], v[38:39], -v[10:11]
	v_fma_f64 v[24:25], -v[12:13], v[34:35], v[10:11]
	s_waitcnt lgkmcnt(0)
	v_mul_f64 v[10:11], v[36:37], v[4:5]
	v_fma_f64 v[10:11], -v[2:3], v[40:41], v[10:11]
	v_mul_f64 v[2:3], v[36:37], -v[2:3]
	v_fma_f64 v[12:13], -v[4:5], v[40:41], v[2:3]
	v_sub_u32_e64 v2, v0, 2 clamp
	v_lshlrev_b32_e32 v42, 4, v2
	v_add_f64 v[18:19], v[18:19], -v[26:27]
	; wave barrier
	ds_write_b128 v9, v[14:17]
	ds_write_b128 v1, v[18:21] offset:512
	ds_write_b128 v1, v[22:25]
	ds_write_b128 v8, v[10:13]
	s_waitcnt lgkmcnt(0)
	; wave barrier
	ds_read_b128 v[2:5], v42 offset:128
	ds_read_b128 v[10:13], v42
	v_add_u32_e32 v14, 2, v0
	v_min_i32_e32 v28, s0, v14
	ds_read_b128 v[14:17], v1
	s_waitcnt lgkmcnt(2)
	v_mul_f64 v[18:19], v[4:5], v[4:5]
	v_fmac_f64_e32 v[18:19], v[2:3], v[2:3]
	v_div_scale_f64 v[20:21], s[6:7], v[18:19], v[18:19], 1.0
	v_rcp_f64_e32 v[22:23], v[20:21]
	v_lshlrev_b32_e32 v43, 4, v28
	v_fma_f64 v[24:25], -v[20:21], v[22:23], 1.0
	v_fmac_f64_e32 v[22:23], v[22:23], v[24:25]
	v_fma_f64 v[24:25], -v[20:21], v[22:23], 1.0
	v_fmac_f64_e32 v[22:23], v[22:23], v[24:25]
	v_div_scale_f64 v[24:25], vcc, 1.0, v[18:19], 1.0
	v_mul_f64 v[26:27], v[24:25], v[22:23]
	v_fma_f64 v[20:21], -v[20:21], v[26:27], v[24:25]
	s_nop 1
	v_div_fmas_f64 v[20:21], v[20:21], v[22:23], v[26:27]
	ds_read_b128 v[22:25], v43 offset:128
	v_div_fixup_f64 v[30:31], v[20:21], v[18:19], 1.0
	ds_read_b128 v[18:21], v1 offset:512
	s_waitcnt lgkmcnt(2)
	v_mul_f64 v[26:27], v[4:5], v[16:17]
	v_fmac_f64_e32 v[26:27], v[14:15], v[2:3]
	v_mul_f64 v[34:35], v[30:31], v[26:27]
	v_mul_f64 v[4:5], v[4:5], -v[14:15]
	ds_read_b128 v[26:29], v43
	s_waitcnt lgkmcnt(2)
	v_mul_f64 v[14:15], v[24:25], v[24:25]
	v_fmac_f64_e32 v[14:15], v[22:23], v[22:23]
	v_div_scale_f64 v[32:33], s[0:1], v[14:15], v[14:15], 1.0
	v_rcp_f64_e32 v[36:37], v[32:33]
	v_fmac_f64_e32 v[4:5], v[16:17], v[2:3]
	v_mul_f64 v[38:39], v[30:31], v[4:5]
	ds_read_b128 v[2:5], v8
	v_fma_f64 v[16:17], -v[32:33], v[36:37], 1.0
	v_fmac_f64_e32 v[36:37], v[36:37], v[16:17]
	v_fma_f64 v[16:17], -v[32:33], v[36:37], 1.0
	v_fmac_f64_e32 v[36:37], v[36:37], v[16:17]
	v_div_scale_f64 v[16:17], vcc, 1.0, v[14:15], 1.0
	v_mul_f64 v[30:31], v[16:17], v[36:37]
	v_fma_f64 v[16:17], -v[32:33], v[30:31], v[16:17]
	s_nop 1
	v_div_fmas_f64 v[16:17], v[16:17], v[36:37], v[30:31]
	v_div_fixup_f64 v[36:37], v[16:17], v[14:15], 1.0
	ds_read_b128 v[14:17], v9
	s_waitcnt lgkmcnt(1)
	v_mul_f64 v[30:31], v[24:25], v[4:5]
	v_fmac_f64_e32 v[30:31], v[2:3], v[22:23]
	v_mul_f64 v[40:41], v[36:37], v[30:31]
	ds_read_b128 v[30:33], v42 offset:256
	v_mul_f64 v[2:3], v[24:25], -v[2:3]
	v_fmac_f64_e32 v[2:3], v[4:5], v[22:23]
	v_mul_f64 v[36:37], v[36:37], v[2:3]
	ds_read_b128 v[2:5], v42 offset:512
	s_waitcnt lgkmcnt(1)
	v_mul_f64 v[22:23], v[38:39], -v[32:33]
	v_mul_f64 v[24:25], v[38:39], v[30:31]
	v_fmac_f64_e32 v[22:23], v[30:31], v[34:35]
	v_fmac_f64_e32 v[24:25], v[32:33], v[34:35]
	v_add_f64 v[14:15], v[14:15], -v[22:23]
	v_add_f64 v[16:17], v[16:17], -v[24:25]
	v_mul_f64 v[22:23], v[36:37], -v[28:29]
	v_mul_f64 v[24:25], v[36:37], v[26:27]
	v_fmac_f64_e32 v[22:23], v[26:27], v[40:41]
	v_fmac_f64_e32 v[24:25], v[28:29], v[40:41]
	v_add_f64 v[14:15], v[14:15], -v[22:23]
	v_add_f64 v[16:17], v[16:17], -v[24:25]
	ds_read_b128 v[22:25], v43 offset:512
	s_waitcnt lgkmcnt(1)
	v_mul_f64 v[26:27], v[38:39], -v[4:5]
	v_fmac_f64_e32 v[26:27], v[2:3], v[34:35]
	v_mul_f64 v[2:3], v[38:39], v[2:3]
	v_fmac_f64_e32 v[2:3], v[4:5], v[34:35]
	v_add_f64 v[18:19], v[18:19], -v[26:27]
	v_add_f64 v[20:21], v[20:21], -v[2:3]
	ds_read_b128 v[2:5], v43 offset:256
	s_waitcnt lgkmcnt(1)
	v_mul_f64 v[26:27], v[36:37], -v[24:25]
	v_fmac_f64_e32 v[26:27], v[22:23], v[40:41]
	v_mul_f64 v[22:23], v[36:37], v[22:23]
	v_fmac_f64_e32 v[22:23], v[24:25], v[40:41]
	v_add_f64 v[20:21], v[20:21], -v[22:23]
	v_mul_f64 v[22:23], v[38:39], v[12:13]
	v_fma_f64 v[22:23], -v[10:11], v[34:35], v[22:23]
	v_mul_f64 v[10:11], v[38:39], -v[10:11]
	v_fma_f64 v[24:25], -v[12:13], v[34:35], v[10:11]
	s_waitcnt lgkmcnt(0)
	v_mul_f64 v[10:11], v[36:37], v[4:5]
	v_fma_f64 v[10:11], -v[2:3], v[40:41], v[10:11]
	v_mul_f64 v[2:3], v[36:37], -v[2:3]
	v_cmp_gt_u32_e32 vcc, 4, v0
	v_add_f64 v[18:19], v[18:19], -v[26:27]
	v_fma_f64 v[12:13], -v[4:5], v[40:41], v[2:3]
	; wave barrier
	ds_write_b128 v9, v[14:17]
	ds_write_b128 v1, v[18:21] offset:512
	ds_write_b128 v1, v[22:25]
	ds_write_b128 v8, v[10:13]
	s_waitcnt lgkmcnt(0)
	; wave barrier
	s_and_saveexec_b64 s[0:1], vcc
	s_cbranch_execz .LBB73_14
; %bb.9:
	v_or_b32_e32 v10, 4, v0
	v_or_b32_e32 v11, 0x200, v1
	v_cmp_le_i32_e32 vcc, s8, v10
                                        ; implicit-def: $vgpr4_vgpr5
	s_and_saveexec_b64 s[6:7], vcc
	s_xor_b64 s[6:7], exec, s[6:7]
	s_cbranch_execz .LBB73_11
; %bb.10:
	ds_read_b128 v[12:15], v9
	ds_read_b128 v[8:11], v11
	s_waitcnt lgkmcnt(1)
	v_mul_f64 v[2:3], v[14:15], v[14:15]
	v_fmac_f64_e32 v[2:3], v[12:13], v[12:13]
	v_div_scale_f64 v[16:17], s[8:9], v[2:3], v[2:3], 1.0
	v_rcp_f64_e32 v[18:19], v[16:17]
	v_div_scale_f64 v[20:21], vcc, 1.0, v[2:3], 1.0
	s_waitcnt lgkmcnt(0)
	v_mul_f64 v[4:5], v[14:15], v[10:11]
	v_fma_f64 v[22:23], -v[16:17], v[18:19], 1.0
	v_fmac_f64_e32 v[18:19], v[18:19], v[22:23]
	v_fma_f64 v[22:23], -v[16:17], v[18:19], 1.0
	v_fmac_f64_e32 v[18:19], v[18:19], v[22:23]
	v_mul_f64 v[22:23], v[20:21], v[18:19]
	v_fma_f64 v[16:17], -v[16:17], v[22:23], v[20:21]
	v_div_fmas_f64 v[16:17], v[16:17], v[18:19], v[22:23]
	v_fmac_f64_e32 v[4:5], v[8:9], v[12:13]
	v_div_fixup_f64 v[16:17], v[16:17], v[2:3], 1.0
	v_mul_f64 v[2:3], v[16:17], v[4:5]
	v_mul_f64 v[4:5], v[14:15], -v[8:9]
	v_fmac_f64_e32 v[4:5], v[10:11], v[12:13]
	v_mul_f64 v[4:5], v[16:17], v[4:5]
                                        ; implicit-def: $vgpr9
                                        ; implicit-def: $vgpr8
                                        ; implicit-def: $vgpr11
                                        ; implicit-def: $vgpr10
.LBB73_11:
	s_andn2_saveexec_b64 s[6:7], s[6:7]
	s_cbranch_execz .LBB73_13
; %bb.12:
	ds_read_b128 v[2:5], v9 offset:64
	ds_read_b128 v[12:15], v9
	ds_read_b128 v[16:19], v1 offset:64
	ds_read_b128 v[20:23], v8
	v_mov_b32_e32 v0, v10
	s_waitcnt lgkmcnt(2)
	v_mul_f64 v[24:25], v[14:15], v[2:3]
	v_mul_f64 v[8:9], v[14:15], -v[4:5]
	s_waitcnt lgkmcnt(0)
	v_mul_f64 v[28:29], v[18:19], v[20:21]
	v_fmac_f64_e32 v[24:25], v[4:5], v[12:13]
	v_mul_f64 v[26:27], v[18:19], -v[22:23]
	v_fmac_f64_e32 v[28:29], v[22:23], v[16:17]
	v_fmac_f64_e32 v[8:9], v[2:3], v[12:13]
	;; [unrolled: 1-line block ×3, first 2 shown]
	v_add_f64 v[28:29], v[24:25], -v[28:29]
	v_add_f64 v[8:9], v[8:9], -v[26:27]
	v_mul_f64 v[24:25], v[28:29], v[28:29]
	v_fmac_f64_e32 v[24:25], v[8:9], v[8:9]
	v_div_scale_f64 v[26:27], s[8:9], v[24:25], v[24:25], 1.0
	v_rcp_f64_e32 v[30:31], v[26:27]
	s_nop 0
	v_fma_f64 v[32:33], -v[26:27], v[30:31], 1.0
	v_fmac_f64_e32 v[30:31], v[30:31], v[32:33]
	v_fma_f64 v[32:33], -v[26:27], v[30:31], 1.0
	v_fmac_f64_e32 v[30:31], v[30:31], v[32:33]
	v_div_scale_f64 v[32:33], vcc, 1.0, v[24:25], 1.0
	v_mul_f64 v[34:35], v[32:33], v[30:31]
	v_fma_f64 v[26:27], -v[26:27], v[34:35], v[32:33]
	v_fma_f64 v[32:33], 0, v[28:29], v[8:9]
	s_nop 0
	v_div_fmas_f64 v[26:27], v[26:27], v[30:31], v[34:35]
	v_div_fixup_f64 v[30:31], v[26:27], v[24:25], 1.0
	ds_read_b128 v[24:27], v11
	v_fma_f64 v[8:9], v[8:9], 0, -v[28:29]
	v_mul_f64 v[32:33], v[32:33], v[30:31]
	v_mul_f64 v[8:9], v[8:9], v[30:31]
	ds_read_b128 v[28:31], v11 offset:64
	s_waitcnt lgkmcnt(1)
	v_mul_f64 v[34:35], v[26:27], -v[4:5]
	v_fmac_f64_e32 v[34:35], v[2:3], v[24:25]
	v_mul_f64 v[2:3], v[2:3], v[26:27]
	v_fmac_f64_e32 v[2:3], v[4:5], v[24:25]
	s_waitcnt lgkmcnt(0)
	v_mul_f64 v[4:5], v[30:31], -v[22:23]
	v_fmac_f64_e32 v[4:5], v[20:21], v[28:29]
	v_mul_f64 v[20:21], v[20:21], v[30:31]
	v_fmac_f64_e32 v[20:21], v[22:23], v[28:29]
	v_add_f64 v[20:21], v[2:3], -v[20:21]
	v_add_f64 v[4:5], v[34:35], -v[4:5]
	v_mul_f64 v[2:3], v[8:9], -v[20:21]
	v_fmac_f64_e32 v[2:3], v[4:5], v[32:33]
	v_mul_f64 v[4:5], v[8:9], v[4:5]
	v_fmac_f64_e32 v[4:5], v[20:21], v[32:33]
	ds_write_b128 v1, v[2:5] offset:384
	v_mul_f64 v[2:3], v[14:15], -v[30:31]
	v_mul_f64 v[4:5], v[14:15], v[28:29]
	v_fmac_f64_e32 v[2:3], v[28:29], v[12:13]
	v_fmac_f64_e32 v[4:5], v[30:31], v[12:13]
	v_mul_f64 v[12:13], v[18:19], -v[26:27]
	v_mul_f64 v[14:15], v[18:19], v[24:25]
	v_fmac_f64_e32 v[12:13], v[24:25], v[16:17]
	v_fmac_f64_e32 v[14:15], v[26:27], v[16:17]
	v_add_f64 v[12:13], v[2:3], -v[12:13]
	v_add_f64 v[14:15], v[4:5], -v[14:15]
	v_mul_f64 v[2:3], v[8:9], -v[14:15]
	v_mul_f64 v[4:5], v[8:9], v[12:13]
	v_fmac_f64_e32 v[2:3], v[12:13], v[32:33]
	v_fmac_f64_e32 v[4:5], v[14:15], v[32:33]
.LBB73_13:
	s_or_b64 exec, exec, s[6:7]
	v_lshlrev_b32_e32 v0, 4, v0
	ds_write_b128 v0, v[2:5] offset:384
.LBB73_14:
	s_or_b64 exec, exec, s[0:1]
	s_waitcnt lgkmcnt(0)
	; wave barrier
	s_and_saveexec_b64 s[0:1], s[2:3]
	s_cbranch_execz .LBB73_16
; %bb.15:
	ds_read2_b64 v[0:3], v1 offset0:48 offset1:49
	v_lshl_add_u64 v[4:5], v[6:7], 4, s[4:5]
	s_waitcnt lgkmcnt(0)
	global_store_dwordx4 v[4:5], v[0:3], off
.LBB73_16:
	s_endpgm
	.section	.rodata,"a",@progbits
	.p2align	6, 0x0
	.amdhsa_kernel _ZN9rocsparseL44gtsv_nopivot_strided_batch_pcr_shared_kernelILj8E21rocsparse_complex_numIdEEEviiiPKT0_S5_S5_PS3_
		.amdhsa_group_segment_fixed_size 640
		.amdhsa_private_segment_fixed_size 0
		.amdhsa_kernarg_size 48
		.amdhsa_user_sgpr_count 2
		.amdhsa_user_sgpr_dispatch_ptr 0
		.amdhsa_user_sgpr_queue_ptr 0
		.amdhsa_user_sgpr_kernarg_segment_ptr 1
		.amdhsa_user_sgpr_dispatch_id 0
		.amdhsa_user_sgpr_kernarg_preload_length 0
		.amdhsa_user_sgpr_kernarg_preload_offset 0
		.amdhsa_user_sgpr_private_segment_size 0
		.amdhsa_uses_dynamic_stack 0
		.amdhsa_enable_private_segment 0
		.amdhsa_system_sgpr_workgroup_id_x 1
		.amdhsa_system_sgpr_workgroup_id_y 0
		.amdhsa_system_sgpr_workgroup_id_z 0
		.amdhsa_system_sgpr_workgroup_info 0
		.amdhsa_system_vgpr_workitem_id 0
		.amdhsa_next_free_vgpr 44
		.amdhsa_next_free_sgpr 10
		.amdhsa_accum_offset 44
		.amdhsa_reserve_vcc 1
		.amdhsa_float_round_mode_32 0
		.amdhsa_float_round_mode_16_64 0
		.amdhsa_float_denorm_mode_32 3
		.amdhsa_float_denorm_mode_16_64 3
		.amdhsa_dx10_clamp 1
		.amdhsa_ieee_mode 1
		.amdhsa_fp16_overflow 0
		.amdhsa_tg_split 0
		.amdhsa_exception_fp_ieee_invalid_op 0
		.amdhsa_exception_fp_denorm_src 0
		.amdhsa_exception_fp_ieee_div_zero 0
		.amdhsa_exception_fp_ieee_overflow 0
		.amdhsa_exception_fp_ieee_underflow 0
		.amdhsa_exception_fp_ieee_inexact 0
		.amdhsa_exception_int_div_zero 0
	.end_amdhsa_kernel
	.section	.text._ZN9rocsparseL44gtsv_nopivot_strided_batch_pcr_shared_kernelILj8E21rocsparse_complex_numIdEEEviiiPKT0_S5_S5_PS3_,"axG",@progbits,_ZN9rocsparseL44gtsv_nopivot_strided_batch_pcr_shared_kernelILj8E21rocsparse_complex_numIdEEEviiiPKT0_S5_S5_PS3_,comdat
.Lfunc_end73:
	.size	_ZN9rocsparseL44gtsv_nopivot_strided_batch_pcr_shared_kernelILj8E21rocsparse_complex_numIdEEEviiiPKT0_S5_S5_PS3_, .Lfunc_end73-_ZN9rocsparseL44gtsv_nopivot_strided_batch_pcr_shared_kernelILj8E21rocsparse_complex_numIdEEEviiiPKT0_S5_S5_PS3_
                                        ; -- End function
	.set _ZN9rocsparseL44gtsv_nopivot_strided_batch_pcr_shared_kernelILj8E21rocsparse_complex_numIdEEEviiiPKT0_S5_S5_PS3_.num_vgpr, 44
	.set _ZN9rocsparseL44gtsv_nopivot_strided_batch_pcr_shared_kernelILj8E21rocsparse_complex_numIdEEEviiiPKT0_S5_S5_PS3_.num_agpr, 0
	.set _ZN9rocsparseL44gtsv_nopivot_strided_batch_pcr_shared_kernelILj8E21rocsparse_complex_numIdEEEviiiPKT0_S5_S5_PS3_.numbered_sgpr, 10
	.set _ZN9rocsparseL44gtsv_nopivot_strided_batch_pcr_shared_kernelILj8E21rocsparse_complex_numIdEEEviiiPKT0_S5_S5_PS3_.num_named_barrier, 0
	.set _ZN9rocsparseL44gtsv_nopivot_strided_batch_pcr_shared_kernelILj8E21rocsparse_complex_numIdEEEviiiPKT0_S5_S5_PS3_.private_seg_size, 0
	.set _ZN9rocsparseL44gtsv_nopivot_strided_batch_pcr_shared_kernelILj8E21rocsparse_complex_numIdEEEviiiPKT0_S5_S5_PS3_.uses_vcc, 1
	.set _ZN9rocsparseL44gtsv_nopivot_strided_batch_pcr_shared_kernelILj8E21rocsparse_complex_numIdEEEviiiPKT0_S5_S5_PS3_.uses_flat_scratch, 0
	.set _ZN9rocsparseL44gtsv_nopivot_strided_batch_pcr_shared_kernelILj8E21rocsparse_complex_numIdEEEviiiPKT0_S5_S5_PS3_.has_dyn_sized_stack, 0
	.set _ZN9rocsparseL44gtsv_nopivot_strided_batch_pcr_shared_kernelILj8E21rocsparse_complex_numIdEEEviiiPKT0_S5_S5_PS3_.has_recursion, 0
	.set _ZN9rocsparseL44gtsv_nopivot_strided_batch_pcr_shared_kernelILj8E21rocsparse_complex_numIdEEEviiiPKT0_S5_S5_PS3_.has_indirect_call, 0
	.section	.AMDGPU.csdata,"",@progbits
; Kernel info:
; codeLenInByte = 2368
; TotalNumSgprs: 16
; NumVgprs: 44
; NumAgprs: 0
; TotalNumVgprs: 44
; ScratchSize: 0
; MemoryBound: 1
; FloatMode: 240
; IeeeMode: 1
; LDSByteSize: 640 bytes/workgroup (compile time only)
; SGPRBlocks: 1
; VGPRBlocks: 5
; NumSGPRsForWavesPerEU: 16
; NumVGPRsForWavesPerEU: 44
; AccumOffset: 44
; Occupancy: 8
; WaveLimiterHint : 0
; COMPUTE_PGM_RSRC2:SCRATCH_EN: 0
; COMPUTE_PGM_RSRC2:USER_SGPR: 2
; COMPUTE_PGM_RSRC2:TRAP_HANDLER: 0
; COMPUTE_PGM_RSRC2:TGID_X_EN: 1
; COMPUTE_PGM_RSRC2:TGID_Y_EN: 0
; COMPUTE_PGM_RSRC2:TGID_Z_EN: 0
; COMPUTE_PGM_RSRC2:TIDIG_COMP_CNT: 0
; COMPUTE_PGM_RSRC3_GFX90A:ACCUM_OFFSET: 10
; COMPUTE_PGM_RSRC3_GFX90A:TG_SPLIT: 0
	.section	.text._ZN9rocsparseL44gtsv_nopivot_strided_batch_pcr_shared_kernelILj16E21rocsparse_complex_numIdEEEviiiPKT0_S5_S5_PS3_,"axG",@progbits,_ZN9rocsparseL44gtsv_nopivot_strided_batch_pcr_shared_kernelILj16E21rocsparse_complex_numIdEEEviiiPKT0_S5_S5_PS3_,comdat
	.globl	_ZN9rocsparseL44gtsv_nopivot_strided_batch_pcr_shared_kernelILj16E21rocsparse_complex_numIdEEEviiiPKT0_S5_S5_PS3_ ; -- Begin function _ZN9rocsparseL44gtsv_nopivot_strided_batch_pcr_shared_kernelILj16E21rocsparse_complex_numIdEEEviiiPKT0_S5_S5_PS3_
	.p2align	8
	.type	_ZN9rocsparseL44gtsv_nopivot_strided_batch_pcr_shared_kernelILj16E21rocsparse_complex_numIdEEEviiiPKT0_S5_S5_PS3_,@function
_ZN9rocsparseL44gtsv_nopivot_strided_batch_pcr_shared_kernelILj16E21rocsparse_complex_numIdEEEviiiPKT0_S5_S5_PS3_: ; @_ZN9rocsparseL44gtsv_nopivot_strided_batch_pcr_shared_kernelILj16E21rocsparse_complex_numIdEEEviiiPKT0_S5_S5_PS3_
; %bb.0:
	s_load_dword s3, s[0:1], 0x8
	s_load_dword s8, s[0:1], 0x0
	v_mov_b64_e32 v[2:3], 0
	v_mov_b64_e32 v[8:9], 0
	;; [unrolled: 1-line block ×3, first 2 shown]
	s_waitcnt lgkmcnt(0)
	s_mul_i32 s4, s3, s2
	v_add_u32_e32 v6, s4, v0
	v_cmp_gt_i32_e64 s[2:3], s8, v0
	v_ashrrev_i32_e32 v7, 31, v6
	s_and_saveexec_b64 s[4:5], s[2:3]
	s_cbranch_execz .LBB74_2
; %bb.1:
	s_load_dwordx2 s[6:7], s[0:1], 0x10
	s_waitcnt lgkmcnt(0)
	v_lshl_add_u64 v[4:5], v[6:7], 4, s[6:7]
	global_load_dwordx4 v[8:11], v[4:5], off
.LBB74_2:
	s_or_b64 exec, exec, s[4:5]
	v_lshlrev_b32_e32 v1, 4, v0
	v_mov_b64_e32 v[4:5], 0
	s_waitcnt vmcnt(0)
	ds_write_b128 v1, v[8:11]
	s_and_saveexec_b64 s[4:5], s[2:3]
	s_cbranch_execz .LBB74_4
; %bb.3:
	s_load_dwordx2 s[6:7], s[0:1], 0x18
	s_waitcnt lgkmcnt(0)
	v_lshl_add_u64 v[2:3], v[6:7], 4, s[6:7]
	global_load_dwordx4 v[2:5], v[2:3], off
.LBB74_4:
	s_or_b64 exec, exec, s[4:5]
	s_load_dwordx2 s[4:5], s[0:1], 0x28
	s_waitcnt vmcnt(0)
	ds_write_b128 v1, v[2:5] offset:256
	v_mov_b64_e32 v[2:3], 0
	v_mov_b64_e32 v[10:11], 0
	;; [unrolled: 1-line block ×3, first 2 shown]
	s_and_saveexec_b64 s[6:7], s[2:3]
	s_cbranch_execz .LBB74_6
; %bb.5:
	s_load_dwordx2 s[0:1], s[0:1], 0x20
	s_waitcnt lgkmcnt(0)
	v_lshl_add_u64 v[4:5], v[6:7], 4, s[0:1]
	global_load_dwordx4 v[10:13], v[4:5], off
.LBB74_6:
	s_or_b64 exec, exec, s[6:7]
	v_or_b32_e32 v9, 0x100, v1
	v_or_b32_e32 v8, 0x200, v1
	v_mov_b64_e32 v[4:5], 0
	s_waitcnt vmcnt(0)
	ds_write_b128 v1, v[10:13] offset:512
	s_and_saveexec_b64 s[0:1], s[2:3]
	s_cbranch_execz .LBB74_8
; %bb.7:
	s_waitcnt lgkmcnt(0)
	v_lshl_add_u64 v[2:3], v[6:7], 4, s[4:5]
	global_load_dwordx4 v[2:5], v[2:3], off
.LBB74_8:
	s_or_b64 exec, exec, s[0:1]
	s_waitcnt vmcnt(0)
	ds_write_b128 v1, v[2:5] offset:1024
	v_sub_u32_e64 v2, v0, 1 clamp
	v_lshlrev_b32_e32 v42, 4, v2
	s_waitcnt lgkmcnt(0)
	; wave barrier
	ds_read_b128 v[2:5], v42 offset:256
	ds_read_b128 v[10:13], v42
	s_add_i32 s0, s8, -1
	v_add_u32_e32 v14, 1, v0
	v_min_i32_e32 v28, s0, v14
	s_waitcnt lgkmcnt(1)
	v_mul_f64 v[18:19], v[4:5], v[4:5]
	v_fmac_f64_e32 v[18:19], v[2:3], v[2:3]
	v_div_scale_f64 v[20:21], s[6:7], v[18:19], v[18:19], 1.0
	v_rcp_f64_e32 v[22:23], v[20:21]
	ds_read_b128 v[14:17], v1
	v_lshlrev_b32_e32 v43, 4, v28
	v_fma_f64 v[24:25], -v[20:21], v[22:23], 1.0
	v_fmac_f64_e32 v[22:23], v[22:23], v[24:25]
	v_fma_f64 v[24:25], -v[20:21], v[22:23], 1.0
	v_fmac_f64_e32 v[22:23], v[22:23], v[24:25]
	v_div_scale_f64 v[24:25], vcc, 1.0, v[18:19], 1.0
	v_mul_f64 v[26:27], v[24:25], v[22:23]
	v_fma_f64 v[20:21], -v[20:21], v[26:27], v[24:25]
	s_nop 1
	v_div_fmas_f64 v[20:21], v[20:21], v[22:23], v[26:27]
	ds_read_b128 v[22:25], v43 offset:256
	v_div_fixup_f64 v[30:31], v[20:21], v[18:19], 1.0
	ds_read_b128 v[18:21], v1 offset:1024
	s_waitcnt lgkmcnt(2)
	v_mul_f64 v[26:27], v[4:5], v[16:17]
	v_fmac_f64_e32 v[26:27], v[14:15], v[2:3]
	v_mul_f64 v[34:35], v[30:31], v[26:27]
	v_mul_f64 v[4:5], v[4:5], -v[14:15]
	ds_read_b128 v[26:29], v43
	s_waitcnt lgkmcnt(2)
	v_mul_f64 v[14:15], v[24:25], v[24:25]
	v_fmac_f64_e32 v[14:15], v[22:23], v[22:23]
	v_div_scale_f64 v[32:33], s[6:7], v[14:15], v[14:15], 1.0
	v_rcp_f64_e32 v[36:37], v[32:33]
	v_fmac_f64_e32 v[4:5], v[16:17], v[2:3]
	v_mul_f64 v[38:39], v[30:31], v[4:5]
	ds_read_b128 v[2:5], v8
	v_fma_f64 v[16:17], -v[32:33], v[36:37], 1.0
	v_fmac_f64_e32 v[36:37], v[36:37], v[16:17]
	v_fma_f64 v[16:17], -v[32:33], v[36:37], 1.0
	v_fmac_f64_e32 v[36:37], v[36:37], v[16:17]
	v_div_scale_f64 v[16:17], vcc, 1.0, v[14:15], 1.0
	v_mul_f64 v[30:31], v[16:17], v[36:37]
	v_fma_f64 v[16:17], -v[32:33], v[30:31], v[16:17]
	s_nop 1
	v_div_fmas_f64 v[16:17], v[16:17], v[36:37], v[30:31]
	v_div_fixup_f64 v[36:37], v[16:17], v[14:15], 1.0
	ds_read_b128 v[14:17], v9
	s_waitcnt lgkmcnt(1)
	v_mul_f64 v[30:31], v[24:25], v[4:5]
	v_fmac_f64_e32 v[30:31], v[2:3], v[22:23]
	v_mul_f64 v[40:41], v[36:37], v[30:31]
	ds_read_b128 v[30:33], v42 offset:512
	v_mul_f64 v[2:3], v[24:25], -v[2:3]
	v_fmac_f64_e32 v[2:3], v[4:5], v[22:23]
	v_mul_f64 v[36:37], v[36:37], v[2:3]
	ds_read_b128 v[2:5], v42 offset:1024
	s_waitcnt lgkmcnt(1)
	v_mul_f64 v[22:23], v[38:39], -v[32:33]
	v_mul_f64 v[24:25], v[38:39], v[30:31]
	v_fmac_f64_e32 v[22:23], v[30:31], v[34:35]
	v_fmac_f64_e32 v[24:25], v[32:33], v[34:35]
	v_add_f64 v[14:15], v[14:15], -v[22:23]
	v_add_f64 v[16:17], v[16:17], -v[24:25]
	v_mul_f64 v[22:23], v[36:37], -v[28:29]
	v_mul_f64 v[24:25], v[36:37], v[26:27]
	v_fmac_f64_e32 v[22:23], v[26:27], v[40:41]
	v_fmac_f64_e32 v[24:25], v[28:29], v[40:41]
	v_add_f64 v[14:15], v[14:15], -v[22:23]
	v_add_f64 v[16:17], v[16:17], -v[24:25]
	ds_read_b128 v[22:25], v43 offset:1024
	s_waitcnt lgkmcnt(1)
	v_mul_f64 v[26:27], v[38:39], -v[4:5]
	v_fmac_f64_e32 v[26:27], v[2:3], v[34:35]
	v_mul_f64 v[2:3], v[38:39], v[2:3]
	v_fmac_f64_e32 v[2:3], v[4:5], v[34:35]
	v_add_f64 v[18:19], v[18:19], -v[26:27]
	v_add_f64 v[20:21], v[20:21], -v[2:3]
	ds_read_b128 v[2:5], v43 offset:512
	s_waitcnt lgkmcnt(1)
	v_mul_f64 v[26:27], v[36:37], -v[24:25]
	v_fmac_f64_e32 v[26:27], v[22:23], v[40:41]
	v_mul_f64 v[22:23], v[36:37], v[22:23]
	v_fmac_f64_e32 v[22:23], v[24:25], v[40:41]
	v_add_f64 v[20:21], v[20:21], -v[22:23]
	v_mul_f64 v[22:23], v[38:39], v[12:13]
	v_fma_f64 v[22:23], -v[10:11], v[34:35], v[22:23]
	v_mul_f64 v[10:11], v[38:39], -v[10:11]
	v_fma_f64 v[24:25], -v[12:13], v[34:35], v[10:11]
	s_waitcnt lgkmcnt(0)
	v_mul_f64 v[10:11], v[36:37], v[4:5]
	v_fma_f64 v[10:11], -v[2:3], v[40:41], v[10:11]
	v_mul_f64 v[2:3], v[36:37], -v[2:3]
	v_fma_f64 v[12:13], -v[4:5], v[40:41], v[2:3]
	v_sub_u32_e64 v2, v0, 2 clamp
	v_lshlrev_b32_e32 v42, 4, v2
	v_add_f64 v[18:19], v[18:19], -v[26:27]
	; wave barrier
	ds_write_b128 v9, v[14:17]
	ds_write_b128 v1, v[18:21] offset:1024
	ds_write_b128 v1, v[22:25]
	ds_write_b128 v8, v[10:13]
	s_waitcnt lgkmcnt(0)
	; wave barrier
	ds_read_b128 v[2:5], v42 offset:256
	ds_read_b128 v[10:13], v42
	v_add_u32_e32 v14, 2, v0
	v_min_i32_e32 v28, s0, v14
	ds_read_b128 v[14:17], v1
	s_waitcnt lgkmcnt(2)
	v_mul_f64 v[18:19], v[4:5], v[4:5]
	v_fmac_f64_e32 v[18:19], v[2:3], v[2:3]
	v_div_scale_f64 v[20:21], s[6:7], v[18:19], v[18:19], 1.0
	v_rcp_f64_e32 v[22:23], v[20:21]
	v_lshlrev_b32_e32 v43, 4, v28
	v_fma_f64 v[24:25], -v[20:21], v[22:23], 1.0
	v_fmac_f64_e32 v[22:23], v[22:23], v[24:25]
	v_fma_f64 v[24:25], -v[20:21], v[22:23], 1.0
	v_fmac_f64_e32 v[22:23], v[22:23], v[24:25]
	v_div_scale_f64 v[24:25], vcc, 1.0, v[18:19], 1.0
	v_mul_f64 v[26:27], v[24:25], v[22:23]
	v_fma_f64 v[20:21], -v[20:21], v[26:27], v[24:25]
	s_nop 1
	v_div_fmas_f64 v[20:21], v[20:21], v[22:23], v[26:27]
	ds_read_b128 v[22:25], v43 offset:256
	v_div_fixup_f64 v[30:31], v[20:21], v[18:19], 1.0
	ds_read_b128 v[18:21], v1 offset:1024
	s_waitcnt lgkmcnt(2)
	v_mul_f64 v[26:27], v[4:5], v[16:17]
	v_fmac_f64_e32 v[26:27], v[14:15], v[2:3]
	v_mul_f64 v[34:35], v[30:31], v[26:27]
	v_mul_f64 v[4:5], v[4:5], -v[14:15]
	ds_read_b128 v[26:29], v43
	s_waitcnt lgkmcnt(2)
	v_mul_f64 v[14:15], v[24:25], v[24:25]
	v_fmac_f64_e32 v[14:15], v[22:23], v[22:23]
	v_div_scale_f64 v[32:33], s[6:7], v[14:15], v[14:15], 1.0
	v_rcp_f64_e32 v[36:37], v[32:33]
	v_fmac_f64_e32 v[4:5], v[16:17], v[2:3]
	v_mul_f64 v[38:39], v[30:31], v[4:5]
	ds_read_b128 v[2:5], v8
	v_fma_f64 v[16:17], -v[32:33], v[36:37], 1.0
	v_fmac_f64_e32 v[36:37], v[36:37], v[16:17]
	v_fma_f64 v[16:17], -v[32:33], v[36:37], 1.0
	v_fmac_f64_e32 v[36:37], v[36:37], v[16:17]
	v_div_scale_f64 v[16:17], vcc, 1.0, v[14:15], 1.0
	v_mul_f64 v[30:31], v[16:17], v[36:37]
	v_fma_f64 v[16:17], -v[32:33], v[30:31], v[16:17]
	s_nop 1
	v_div_fmas_f64 v[16:17], v[16:17], v[36:37], v[30:31]
	v_div_fixup_f64 v[36:37], v[16:17], v[14:15], 1.0
	ds_read_b128 v[14:17], v9
	s_waitcnt lgkmcnt(1)
	v_mul_f64 v[30:31], v[24:25], v[4:5]
	v_fmac_f64_e32 v[30:31], v[2:3], v[22:23]
	v_mul_f64 v[40:41], v[36:37], v[30:31]
	ds_read_b128 v[30:33], v42 offset:512
	v_mul_f64 v[2:3], v[24:25], -v[2:3]
	v_fmac_f64_e32 v[2:3], v[4:5], v[22:23]
	v_mul_f64 v[36:37], v[36:37], v[2:3]
	ds_read_b128 v[2:5], v42 offset:1024
	s_waitcnt lgkmcnt(1)
	v_mul_f64 v[22:23], v[38:39], -v[32:33]
	v_mul_f64 v[24:25], v[38:39], v[30:31]
	v_fmac_f64_e32 v[22:23], v[30:31], v[34:35]
	v_fmac_f64_e32 v[24:25], v[32:33], v[34:35]
	v_add_f64 v[14:15], v[14:15], -v[22:23]
	v_add_f64 v[16:17], v[16:17], -v[24:25]
	v_mul_f64 v[22:23], v[36:37], -v[28:29]
	v_mul_f64 v[24:25], v[36:37], v[26:27]
	v_fmac_f64_e32 v[22:23], v[26:27], v[40:41]
	v_fmac_f64_e32 v[24:25], v[28:29], v[40:41]
	v_add_f64 v[14:15], v[14:15], -v[22:23]
	v_add_f64 v[16:17], v[16:17], -v[24:25]
	ds_read_b128 v[22:25], v43 offset:1024
	s_waitcnt lgkmcnt(1)
	v_mul_f64 v[26:27], v[38:39], -v[4:5]
	v_fmac_f64_e32 v[26:27], v[2:3], v[34:35]
	v_mul_f64 v[2:3], v[38:39], v[2:3]
	v_fmac_f64_e32 v[2:3], v[4:5], v[34:35]
	v_add_f64 v[18:19], v[18:19], -v[26:27]
	v_add_f64 v[20:21], v[20:21], -v[2:3]
	ds_read_b128 v[2:5], v43 offset:512
	s_waitcnt lgkmcnt(1)
	v_mul_f64 v[26:27], v[36:37], -v[24:25]
	v_fmac_f64_e32 v[26:27], v[22:23], v[40:41]
	v_mul_f64 v[22:23], v[36:37], v[22:23]
	v_fmac_f64_e32 v[22:23], v[24:25], v[40:41]
	v_add_f64 v[20:21], v[20:21], -v[22:23]
	v_mul_f64 v[22:23], v[38:39], v[12:13]
	v_fma_f64 v[22:23], -v[10:11], v[34:35], v[22:23]
	v_mul_f64 v[10:11], v[38:39], -v[10:11]
	v_fma_f64 v[24:25], -v[12:13], v[34:35], v[10:11]
	s_waitcnt lgkmcnt(0)
	v_mul_f64 v[10:11], v[36:37], v[4:5]
	v_fma_f64 v[10:11], -v[2:3], v[40:41], v[10:11]
	v_mul_f64 v[2:3], v[36:37], -v[2:3]
	v_fma_f64 v[12:13], -v[4:5], v[40:41], v[2:3]
	v_sub_u32_e64 v2, v0, 4 clamp
	v_lshlrev_b32_e32 v42, 4, v2
	v_add_f64 v[18:19], v[18:19], -v[26:27]
	; wave barrier
	ds_write_b128 v9, v[14:17]
	ds_write_b128 v1, v[18:21] offset:1024
	ds_write_b128 v1, v[22:25]
	ds_write_b128 v8, v[10:13]
	s_waitcnt lgkmcnt(0)
	; wave barrier
	ds_read_b128 v[2:5], v42 offset:256
	ds_read_b128 v[10:13], v42
	v_add_u32_e32 v14, 4, v0
	v_min_i32_e32 v28, s0, v14
	ds_read_b128 v[14:17], v1
	s_waitcnt lgkmcnt(2)
	v_mul_f64 v[18:19], v[4:5], v[4:5]
	v_fmac_f64_e32 v[18:19], v[2:3], v[2:3]
	v_div_scale_f64 v[20:21], s[6:7], v[18:19], v[18:19], 1.0
	v_rcp_f64_e32 v[22:23], v[20:21]
	v_lshlrev_b32_e32 v43, 4, v28
	v_fma_f64 v[24:25], -v[20:21], v[22:23], 1.0
	v_fmac_f64_e32 v[22:23], v[22:23], v[24:25]
	v_fma_f64 v[24:25], -v[20:21], v[22:23], 1.0
	v_fmac_f64_e32 v[22:23], v[22:23], v[24:25]
	v_div_scale_f64 v[24:25], vcc, 1.0, v[18:19], 1.0
	v_mul_f64 v[26:27], v[24:25], v[22:23]
	v_fma_f64 v[20:21], -v[20:21], v[26:27], v[24:25]
	s_nop 1
	v_div_fmas_f64 v[20:21], v[20:21], v[22:23], v[26:27]
	ds_read_b128 v[22:25], v43 offset:256
	v_div_fixup_f64 v[30:31], v[20:21], v[18:19], 1.0
	ds_read_b128 v[18:21], v1 offset:1024
	s_waitcnt lgkmcnt(2)
	v_mul_f64 v[26:27], v[4:5], v[16:17]
	v_fmac_f64_e32 v[26:27], v[14:15], v[2:3]
	v_mul_f64 v[34:35], v[30:31], v[26:27]
	v_mul_f64 v[4:5], v[4:5], -v[14:15]
	ds_read_b128 v[26:29], v43
	s_waitcnt lgkmcnt(2)
	v_mul_f64 v[14:15], v[24:25], v[24:25]
	v_fmac_f64_e32 v[14:15], v[22:23], v[22:23]
	v_div_scale_f64 v[32:33], s[0:1], v[14:15], v[14:15], 1.0
	v_rcp_f64_e32 v[36:37], v[32:33]
	v_fmac_f64_e32 v[4:5], v[16:17], v[2:3]
	v_mul_f64 v[38:39], v[30:31], v[4:5]
	ds_read_b128 v[2:5], v8
	v_fma_f64 v[16:17], -v[32:33], v[36:37], 1.0
	v_fmac_f64_e32 v[36:37], v[36:37], v[16:17]
	v_fma_f64 v[16:17], -v[32:33], v[36:37], 1.0
	v_fmac_f64_e32 v[36:37], v[36:37], v[16:17]
	v_div_scale_f64 v[16:17], vcc, 1.0, v[14:15], 1.0
	v_mul_f64 v[30:31], v[16:17], v[36:37]
	v_fma_f64 v[16:17], -v[32:33], v[30:31], v[16:17]
	s_nop 1
	v_div_fmas_f64 v[16:17], v[16:17], v[36:37], v[30:31]
	v_div_fixup_f64 v[36:37], v[16:17], v[14:15], 1.0
	ds_read_b128 v[14:17], v9
	s_waitcnt lgkmcnt(1)
	v_mul_f64 v[30:31], v[24:25], v[4:5]
	v_fmac_f64_e32 v[30:31], v[2:3], v[22:23]
	v_mul_f64 v[40:41], v[36:37], v[30:31]
	ds_read_b128 v[30:33], v42 offset:512
	v_mul_f64 v[2:3], v[24:25], -v[2:3]
	v_fmac_f64_e32 v[2:3], v[4:5], v[22:23]
	v_mul_f64 v[36:37], v[36:37], v[2:3]
	ds_read_b128 v[2:5], v42 offset:1024
	s_waitcnt lgkmcnt(1)
	v_mul_f64 v[22:23], v[38:39], -v[32:33]
	v_mul_f64 v[24:25], v[38:39], v[30:31]
	v_fmac_f64_e32 v[22:23], v[30:31], v[34:35]
	v_fmac_f64_e32 v[24:25], v[32:33], v[34:35]
	v_add_f64 v[14:15], v[14:15], -v[22:23]
	v_add_f64 v[16:17], v[16:17], -v[24:25]
	v_mul_f64 v[22:23], v[36:37], -v[28:29]
	v_mul_f64 v[24:25], v[36:37], v[26:27]
	v_fmac_f64_e32 v[22:23], v[26:27], v[40:41]
	v_fmac_f64_e32 v[24:25], v[28:29], v[40:41]
	v_add_f64 v[14:15], v[14:15], -v[22:23]
	v_add_f64 v[16:17], v[16:17], -v[24:25]
	ds_read_b128 v[22:25], v43 offset:1024
	s_waitcnt lgkmcnt(1)
	v_mul_f64 v[26:27], v[38:39], -v[4:5]
	v_fmac_f64_e32 v[26:27], v[2:3], v[34:35]
	v_mul_f64 v[2:3], v[38:39], v[2:3]
	v_fmac_f64_e32 v[2:3], v[4:5], v[34:35]
	v_add_f64 v[18:19], v[18:19], -v[26:27]
	v_add_f64 v[20:21], v[20:21], -v[2:3]
	ds_read_b128 v[2:5], v43 offset:512
	s_waitcnt lgkmcnt(1)
	v_mul_f64 v[26:27], v[36:37], -v[24:25]
	v_fmac_f64_e32 v[26:27], v[22:23], v[40:41]
	v_mul_f64 v[22:23], v[36:37], v[22:23]
	v_fmac_f64_e32 v[22:23], v[24:25], v[40:41]
	v_add_f64 v[20:21], v[20:21], -v[22:23]
	v_mul_f64 v[22:23], v[38:39], v[12:13]
	v_fma_f64 v[22:23], -v[10:11], v[34:35], v[22:23]
	v_mul_f64 v[10:11], v[38:39], -v[10:11]
	v_fma_f64 v[24:25], -v[12:13], v[34:35], v[10:11]
	s_waitcnt lgkmcnt(0)
	v_mul_f64 v[10:11], v[36:37], v[4:5]
	v_fma_f64 v[10:11], -v[2:3], v[40:41], v[10:11]
	v_mul_f64 v[2:3], v[36:37], -v[2:3]
	v_cmp_gt_u32_e32 vcc, 8, v0
	v_add_f64 v[18:19], v[18:19], -v[26:27]
	v_fma_f64 v[12:13], -v[4:5], v[40:41], v[2:3]
	; wave barrier
	ds_write_b128 v9, v[14:17]
	ds_write_b128 v1, v[18:21] offset:1024
	ds_write_b128 v1, v[22:25]
	ds_write_b128 v8, v[10:13]
	s_waitcnt lgkmcnt(0)
	; wave barrier
	s_and_saveexec_b64 s[0:1], vcc
	s_cbranch_execz .LBB74_14
; %bb.9:
	v_or_b32_e32 v10, 8, v0
	v_or_b32_e32 v11, 0x400, v1
	v_cmp_le_i32_e32 vcc, s8, v10
                                        ; implicit-def: $vgpr4_vgpr5
	s_and_saveexec_b64 s[6:7], vcc
	s_xor_b64 s[6:7], exec, s[6:7]
	s_cbranch_execz .LBB74_11
; %bb.10:
	ds_read_b128 v[12:15], v9
	ds_read_b128 v[8:11], v11
	s_waitcnt lgkmcnt(1)
	v_mul_f64 v[2:3], v[14:15], v[14:15]
	v_fmac_f64_e32 v[2:3], v[12:13], v[12:13]
	v_div_scale_f64 v[16:17], s[8:9], v[2:3], v[2:3], 1.0
	v_rcp_f64_e32 v[18:19], v[16:17]
	v_div_scale_f64 v[20:21], vcc, 1.0, v[2:3], 1.0
	s_waitcnt lgkmcnt(0)
	v_mul_f64 v[4:5], v[14:15], v[10:11]
	v_fma_f64 v[22:23], -v[16:17], v[18:19], 1.0
	v_fmac_f64_e32 v[18:19], v[18:19], v[22:23]
	v_fma_f64 v[22:23], -v[16:17], v[18:19], 1.0
	v_fmac_f64_e32 v[18:19], v[18:19], v[22:23]
	v_mul_f64 v[22:23], v[20:21], v[18:19]
	v_fma_f64 v[16:17], -v[16:17], v[22:23], v[20:21]
	v_div_fmas_f64 v[16:17], v[16:17], v[18:19], v[22:23]
	v_fmac_f64_e32 v[4:5], v[8:9], v[12:13]
	v_div_fixup_f64 v[16:17], v[16:17], v[2:3], 1.0
	v_mul_f64 v[2:3], v[16:17], v[4:5]
	v_mul_f64 v[4:5], v[14:15], -v[8:9]
	v_fmac_f64_e32 v[4:5], v[10:11], v[12:13]
	v_mul_f64 v[4:5], v[16:17], v[4:5]
                                        ; implicit-def: $vgpr9
                                        ; implicit-def: $vgpr8
                                        ; implicit-def: $vgpr11
                                        ; implicit-def: $vgpr10
.LBB74_11:
	s_andn2_saveexec_b64 s[6:7], s[6:7]
	s_cbranch_execz .LBB74_13
; %bb.12:
	ds_read_b128 v[2:5], v9 offset:128
	ds_read_b128 v[12:15], v9
	ds_read_b128 v[16:19], v1 offset:128
	ds_read_b128 v[20:23], v8
	v_mov_b32_e32 v0, v10
	s_waitcnt lgkmcnt(2)
	v_mul_f64 v[24:25], v[14:15], v[2:3]
	v_mul_f64 v[8:9], v[14:15], -v[4:5]
	s_waitcnt lgkmcnt(0)
	v_mul_f64 v[28:29], v[18:19], v[20:21]
	v_fmac_f64_e32 v[24:25], v[4:5], v[12:13]
	v_mul_f64 v[26:27], v[18:19], -v[22:23]
	v_fmac_f64_e32 v[28:29], v[22:23], v[16:17]
	v_fmac_f64_e32 v[8:9], v[2:3], v[12:13]
	;; [unrolled: 1-line block ×3, first 2 shown]
	v_add_f64 v[28:29], v[24:25], -v[28:29]
	v_add_f64 v[8:9], v[8:9], -v[26:27]
	v_mul_f64 v[24:25], v[28:29], v[28:29]
	v_fmac_f64_e32 v[24:25], v[8:9], v[8:9]
	v_div_scale_f64 v[26:27], s[8:9], v[24:25], v[24:25], 1.0
	v_rcp_f64_e32 v[30:31], v[26:27]
	s_nop 0
	v_fma_f64 v[32:33], -v[26:27], v[30:31], 1.0
	v_fmac_f64_e32 v[30:31], v[30:31], v[32:33]
	v_fma_f64 v[32:33], -v[26:27], v[30:31], 1.0
	v_fmac_f64_e32 v[30:31], v[30:31], v[32:33]
	v_div_scale_f64 v[32:33], vcc, 1.0, v[24:25], 1.0
	v_mul_f64 v[34:35], v[32:33], v[30:31]
	v_fma_f64 v[26:27], -v[26:27], v[34:35], v[32:33]
	v_fma_f64 v[32:33], 0, v[28:29], v[8:9]
	s_nop 0
	v_div_fmas_f64 v[26:27], v[26:27], v[30:31], v[34:35]
	v_div_fixup_f64 v[30:31], v[26:27], v[24:25], 1.0
	ds_read_b128 v[24:27], v11
	v_fma_f64 v[8:9], v[8:9], 0, -v[28:29]
	v_mul_f64 v[32:33], v[32:33], v[30:31]
	v_mul_f64 v[8:9], v[8:9], v[30:31]
	ds_read_b128 v[28:31], v11 offset:128
	s_waitcnt lgkmcnt(1)
	v_mul_f64 v[34:35], v[26:27], -v[4:5]
	v_fmac_f64_e32 v[34:35], v[2:3], v[24:25]
	v_mul_f64 v[2:3], v[2:3], v[26:27]
	v_fmac_f64_e32 v[2:3], v[4:5], v[24:25]
	s_waitcnt lgkmcnt(0)
	v_mul_f64 v[4:5], v[30:31], -v[22:23]
	v_fmac_f64_e32 v[4:5], v[20:21], v[28:29]
	v_mul_f64 v[20:21], v[20:21], v[30:31]
	v_fmac_f64_e32 v[20:21], v[22:23], v[28:29]
	v_add_f64 v[20:21], v[2:3], -v[20:21]
	v_add_f64 v[4:5], v[34:35], -v[4:5]
	v_mul_f64 v[2:3], v[8:9], -v[20:21]
	v_fmac_f64_e32 v[2:3], v[4:5], v[32:33]
	v_mul_f64 v[4:5], v[8:9], v[4:5]
	v_fmac_f64_e32 v[4:5], v[20:21], v[32:33]
	ds_write_b128 v1, v[2:5] offset:768
	v_mul_f64 v[2:3], v[14:15], -v[30:31]
	v_mul_f64 v[4:5], v[14:15], v[28:29]
	v_fmac_f64_e32 v[2:3], v[28:29], v[12:13]
	v_fmac_f64_e32 v[4:5], v[30:31], v[12:13]
	v_mul_f64 v[12:13], v[18:19], -v[26:27]
	v_mul_f64 v[14:15], v[18:19], v[24:25]
	v_fmac_f64_e32 v[12:13], v[24:25], v[16:17]
	v_fmac_f64_e32 v[14:15], v[26:27], v[16:17]
	v_add_f64 v[12:13], v[2:3], -v[12:13]
	v_add_f64 v[14:15], v[4:5], -v[14:15]
	v_mul_f64 v[2:3], v[8:9], -v[14:15]
	v_mul_f64 v[4:5], v[8:9], v[12:13]
	v_fmac_f64_e32 v[2:3], v[12:13], v[32:33]
	v_fmac_f64_e32 v[4:5], v[14:15], v[32:33]
.LBB74_13:
	s_or_b64 exec, exec, s[6:7]
	v_lshlrev_b32_e32 v0, 4, v0
	ds_write_b128 v0, v[2:5] offset:768
.LBB74_14:
	s_or_b64 exec, exec, s[0:1]
	s_waitcnt lgkmcnt(0)
	; wave barrier
	s_and_saveexec_b64 s[0:1], s[2:3]
	s_cbranch_execz .LBB74_16
; %bb.15:
	ds_read2_b64 v[0:3], v1 offset0:96 offset1:97
	v_lshl_add_u64 v[4:5], v[6:7], 4, s[4:5]
	s_waitcnt lgkmcnt(0)
	global_store_dwordx4 v[4:5], v[0:3], off
.LBB74_16:
	s_endpgm
	.section	.rodata,"a",@progbits
	.p2align	6, 0x0
	.amdhsa_kernel _ZN9rocsparseL44gtsv_nopivot_strided_batch_pcr_shared_kernelILj16E21rocsparse_complex_numIdEEEviiiPKT0_S5_S5_PS3_
		.amdhsa_group_segment_fixed_size 1280
		.amdhsa_private_segment_fixed_size 0
		.amdhsa_kernarg_size 48
		.amdhsa_user_sgpr_count 2
		.amdhsa_user_sgpr_dispatch_ptr 0
		.amdhsa_user_sgpr_queue_ptr 0
		.amdhsa_user_sgpr_kernarg_segment_ptr 1
		.amdhsa_user_sgpr_dispatch_id 0
		.amdhsa_user_sgpr_kernarg_preload_length 0
		.amdhsa_user_sgpr_kernarg_preload_offset 0
		.amdhsa_user_sgpr_private_segment_size 0
		.amdhsa_uses_dynamic_stack 0
		.amdhsa_enable_private_segment 0
		.amdhsa_system_sgpr_workgroup_id_x 1
		.amdhsa_system_sgpr_workgroup_id_y 0
		.amdhsa_system_sgpr_workgroup_id_z 0
		.amdhsa_system_sgpr_workgroup_info 0
		.amdhsa_system_vgpr_workitem_id 0
		.amdhsa_next_free_vgpr 44
		.amdhsa_next_free_sgpr 10
		.amdhsa_accum_offset 44
		.amdhsa_reserve_vcc 1
		.amdhsa_float_round_mode_32 0
		.amdhsa_float_round_mode_16_64 0
		.amdhsa_float_denorm_mode_32 3
		.amdhsa_float_denorm_mode_16_64 3
		.amdhsa_dx10_clamp 1
		.amdhsa_ieee_mode 1
		.amdhsa_fp16_overflow 0
		.amdhsa_tg_split 0
		.amdhsa_exception_fp_ieee_invalid_op 0
		.amdhsa_exception_fp_denorm_src 0
		.amdhsa_exception_fp_ieee_div_zero 0
		.amdhsa_exception_fp_ieee_overflow 0
		.amdhsa_exception_fp_ieee_underflow 0
		.amdhsa_exception_fp_ieee_inexact 0
		.amdhsa_exception_int_div_zero 0
	.end_amdhsa_kernel
	.section	.text._ZN9rocsparseL44gtsv_nopivot_strided_batch_pcr_shared_kernelILj16E21rocsparse_complex_numIdEEEviiiPKT0_S5_S5_PS3_,"axG",@progbits,_ZN9rocsparseL44gtsv_nopivot_strided_batch_pcr_shared_kernelILj16E21rocsparse_complex_numIdEEEviiiPKT0_S5_S5_PS3_,comdat
.Lfunc_end74:
	.size	_ZN9rocsparseL44gtsv_nopivot_strided_batch_pcr_shared_kernelILj16E21rocsparse_complex_numIdEEEviiiPKT0_S5_S5_PS3_, .Lfunc_end74-_ZN9rocsparseL44gtsv_nopivot_strided_batch_pcr_shared_kernelILj16E21rocsparse_complex_numIdEEEviiiPKT0_S5_S5_PS3_
                                        ; -- End function
	.set _ZN9rocsparseL44gtsv_nopivot_strided_batch_pcr_shared_kernelILj16E21rocsparse_complex_numIdEEEviiiPKT0_S5_S5_PS3_.num_vgpr, 44
	.set _ZN9rocsparseL44gtsv_nopivot_strided_batch_pcr_shared_kernelILj16E21rocsparse_complex_numIdEEEviiiPKT0_S5_S5_PS3_.num_agpr, 0
	.set _ZN9rocsparseL44gtsv_nopivot_strided_batch_pcr_shared_kernelILj16E21rocsparse_complex_numIdEEEviiiPKT0_S5_S5_PS3_.numbered_sgpr, 10
	.set _ZN9rocsparseL44gtsv_nopivot_strided_batch_pcr_shared_kernelILj16E21rocsparse_complex_numIdEEEviiiPKT0_S5_S5_PS3_.num_named_barrier, 0
	.set _ZN9rocsparseL44gtsv_nopivot_strided_batch_pcr_shared_kernelILj16E21rocsparse_complex_numIdEEEviiiPKT0_S5_S5_PS3_.private_seg_size, 0
	.set _ZN9rocsparseL44gtsv_nopivot_strided_batch_pcr_shared_kernelILj16E21rocsparse_complex_numIdEEEviiiPKT0_S5_S5_PS3_.uses_vcc, 1
	.set _ZN9rocsparseL44gtsv_nopivot_strided_batch_pcr_shared_kernelILj16E21rocsparse_complex_numIdEEEviiiPKT0_S5_S5_PS3_.uses_flat_scratch, 0
	.set _ZN9rocsparseL44gtsv_nopivot_strided_batch_pcr_shared_kernelILj16E21rocsparse_complex_numIdEEEviiiPKT0_S5_S5_PS3_.has_dyn_sized_stack, 0
	.set _ZN9rocsparseL44gtsv_nopivot_strided_batch_pcr_shared_kernelILj16E21rocsparse_complex_numIdEEEviiiPKT0_S5_S5_PS3_.has_recursion, 0
	.set _ZN9rocsparseL44gtsv_nopivot_strided_batch_pcr_shared_kernelILj16E21rocsparse_complex_numIdEEEviiiPKT0_S5_S5_PS3_.has_indirect_call, 0
	.section	.AMDGPU.csdata,"",@progbits
; Kernel info:
; codeLenInByte = 3044
; TotalNumSgprs: 16
; NumVgprs: 44
; NumAgprs: 0
; TotalNumVgprs: 44
; ScratchSize: 0
; MemoryBound: 1
; FloatMode: 240
; IeeeMode: 1
; LDSByteSize: 1280 bytes/workgroup (compile time only)
; SGPRBlocks: 1
; VGPRBlocks: 5
; NumSGPRsForWavesPerEU: 16
; NumVGPRsForWavesPerEU: 44
; AccumOffset: 44
; Occupancy: 8
; WaveLimiterHint : 0
; COMPUTE_PGM_RSRC2:SCRATCH_EN: 0
; COMPUTE_PGM_RSRC2:USER_SGPR: 2
; COMPUTE_PGM_RSRC2:TRAP_HANDLER: 0
; COMPUTE_PGM_RSRC2:TGID_X_EN: 1
; COMPUTE_PGM_RSRC2:TGID_Y_EN: 0
; COMPUTE_PGM_RSRC2:TGID_Z_EN: 0
; COMPUTE_PGM_RSRC2:TIDIG_COMP_CNT: 0
; COMPUTE_PGM_RSRC3_GFX90A:ACCUM_OFFSET: 10
; COMPUTE_PGM_RSRC3_GFX90A:TG_SPLIT: 0
	.section	.text._ZN9rocsparseL44gtsv_nopivot_strided_batch_pcr_shared_kernelILj32E21rocsparse_complex_numIdEEEviiiPKT0_S5_S5_PS3_,"axG",@progbits,_ZN9rocsparseL44gtsv_nopivot_strided_batch_pcr_shared_kernelILj32E21rocsparse_complex_numIdEEEviiiPKT0_S5_S5_PS3_,comdat
	.globl	_ZN9rocsparseL44gtsv_nopivot_strided_batch_pcr_shared_kernelILj32E21rocsparse_complex_numIdEEEviiiPKT0_S5_S5_PS3_ ; -- Begin function _ZN9rocsparseL44gtsv_nopivot_strided_batch_pcr_shared_kernelILj32E21rocsparse_complex_numIdEEEviiiPKT0_S5_S5_PS3_
	.p2align	8
	.type	_ZN9rocsparseL44gtsv_nopivot_strided_batch_pcr_shared_kernelILj32E21rocsparse_complex_numIdEEEviiiPKT0_S5_S5_PS3_,@function
_ZN9rocsparseL44gtsv_nopivot_strided_batch_pcr_shared_kernelILj32E21rocsparse_complex_numIdEEEviiiPKT0_S5_S5_PS3_: ; @_ZN9rocsparseL44gtsv_nopivot_strided_batch_pcr_shared_kernelILj32E21rocsparse_complex_numIdEEEviiiPKT0_S5_S5_PS3_
; %bb.0:
	s_load_dword s3, s[0:1], 0x8
	s_load_dword s8, s[0:1], 0x0
	v_mov_b64_e32 v[2:3], 0
	v_mov_b64_e32 v[8:9], 0
	;; [unrolled: 1-line block ×3, first 2 shown]
	s_waitcnt lgkmcnt(0)
	s_mul_i32 s4, s3, s2
	v_add_u32_e32 v6, s4, v0
	v_cmp_gt_i32_e64 s[2:3], s8, v0
	v_ashrrev_i32_e32 v7, 31, v6
	s_and_saveexec_b64 s[4:5], s[2:3]
	s_cbranch_execz .LBB75_2
; %bb.1:
	s_load_dwordx2 s[6:7], s[0:1], 0x10
	s_waitcnt lgkmcnt(0)
	v_lshl_add_u64 v[4:5], v[6:7], 4, s[6:7]
	global_load_dwordx4 v[8:11], v[4:5], off
.LBB75_2:
	s_or_b64 exec, exec, s[4:5]
	v_lshlrev_b32_e32 v1, 4, v0
	v_mov_b64_e32 v[4:5], 0
	s_waitcnt vmcnt(0)
	ds_write_b128 v1, v[8:11]
	s_and_saveexec_b64 s[4:5], s[2:3]
	s_cbranch_execz .LBB75_4
; %bb.3:
	s_load_dwordx2 s[6:7], s[0:1], 0x18
	s_waitcnt lgkmcnt(0)
	v_lshl_add_u64 v[2:3], v[6:7], 4, s[6:7]
	global_load_dwordx4 v[2:5], v[2:3], off
.LBB75_4:
	s_or_b64 exec, exec, s[4:5]
	s_load_dwordx2 s[4:5], s[0:1], 0x28
	s_waitcnt vmcnt(0)
	ds_write_b128 v1, v[2:5] offset:512
	v_mov_b64_e32 v[2:3], 0
	v_mov_b64_e32 v[10:11], 0
	;; [unrolled: 1-line block ×3, first 2 shown]
	s_and_saveexec_b64 s[6:7], s[2:3]
	s_cbranch_execz .LBB75_6
; %bb.5:
	s_load_dwordx2 s[0:1], s[0:1], 0x20
	s_waitcnt lgkmcnt(0)
	v_lshl_add_u64 v[4:5], v[6:7], 4, s[0:1]
	global_load_dwordx4 v[10:13], v[4:5], off
.LBB75_6:
	s_or_b64 exec, exec, s[6:7]
	v_or_b32_e32 v9, 0x200, v1
	v_or_b32_e32 v8, 0x400, v1
	v_mov_b64_e32 v[4:5], 0
	s_waitcnt vmcnt(0)
	ds_write_b128 v1, v[10:13] offset:1024
	s_and_saveexec_b64 s[0:1], s[2:3]
	s_cbranch_execz .LBB75_8
; %bb.7:
	s_waitcnt lgkmcnt(0)
	v_lshl_add_u64 v[2:3], v[6:7], 4, s[4:5]
	global_load_dwordx4 v[2:5], v[2:3], off
.LBB75_8:
	s_or_b64 exec, exec, s[0:1]
	s_waitcnt vmcnt(0)
	ds_write_b128 v1, v[2:5] offset:2048
	v_sub_u32_e64 v2, v0, 1 clamp
	v_lshlrev_b32_e32 v42, 4, v2
	s_waitcnt lgkmcnt(0)
	; wave barrier
	ds_read_b128 v[2:5], v42 offset:512
	ds_read_b128 v[10:13], v42
	s_add_i32 s0, s8, -1
	v_add_u32_e32 v14, 1, v0
	v_min_i32_e32 v28, s0, v14
	s_waitcnt lgkmcnt(1)
	v_mul_f64 v[18:19], v[4:5], v[4:5]
	v_fmac_f64_e32 v[18:19], v[2:3], v[2:3]
	v_div_scale_f64 v[20:21], s[6:7], v[18:19], v[18:19], 1.0
	v_rcp_f64_e32 v[22:23], v[20:21]
	ds_read_b128 v[14:17], v1
	v_lshlrev_b32_e32 v43, 4, v28
	v_fma_f64 v[24:25], -v[20:21], v[22:23], 1.0
	v_fmac_f64_e32 v[22:23], v[22:23], v[24:25]
	v_fma_f64 v[24:25], -v[20:21], v[22:23], 1.0
	v_fmac_f64_e32 v[22:23], v[22:23], v[24:25]
	v_div_scale_f64 v[24:25], vcc, 1.0, v[18:19], 1.0
	v_mul_f64 v[26:27], v[24:25], v[22:23]
	v_fma_f64 v[20:21], -v[20:21], v[26:27], v[24:25]
	s_nop 1
	v_div_fmas_f64 v[20:21], v[20:21], v[22:23], v[26:27]
	ds_read_b128 v[22:25], v43 offset:512
	v_div_fixup_f64 v[30:31], v[20:21], v[18:19], 1.0
	ds_read_b128 v[18:21], v1 offset:2048
	s_waitcnt lgkmcnt(2)
	v_mul_f64 v[26:27], v[4:5], v[16:17]
	v_fmac_f64_e32 v[26:27], v[14:15], v[2:3]
	v_mul_f64 v[34:35], v[30:31], v[26:27]
	v_mul_f64 v[4:5], v[4:5], -v[14:15]
	ds_read_b128 v[26:29], v43
	s_waitcnt lgkmcnt(2)
	v_mul_f64 v[14:15], v[24:25], v[24:25]
	v_fmac_f64_e32 v[14:15], v[22:23], v[22:23]
	v_div_scale_f64 v[32:33], s[6:7], v[14:15], v[14:15], 1.0
	v_rcp_f64_e32 v[36:37], v[32:33]
	v_fmac_f64_e32 v[4:5], v[16:17], v[2:3]
	v_mul_f64 v[38:39], v[30:31], v[4:5]
	ds_read_b128 v[2:5], v8
	v_fma_f64 v[16:17], -v[32:33], v[36:37], 1.0
	v_fmac_f64_e32 v[36:37], v[36:37], v[16:17]
	v_fma_f64 v[16:17], -v[32:33], v[36:37], 1.0
	v_fmac_f64_e32 v[36:37], v[36:37], v[16:17]
	v_div_scale_f64 v[16:17], vcc, 1.0, v[14:15], 1.0
	v_mul_f64 v[30:31], v[16:17], v[36:37]
	v_fma_f64 v[16:17], -v[32:33], v[30:31], v[16:17]
	s_nop 1
	v_div_fmas_f64 v[16:17], v[16:17], v[36:37], v[30:31]
	v_div_fixup_f64 v[36:37], v[16:17], v[14:15], 1.0
	ds_read_b128 v[14:17], v9
	s_waitcnt lgkmcnt(1)
	v_mul_f64 v[30:31], v[24:25], v[4:5]
	v_fmac_f64_e32 v[30:31], v[2:3], v[22:23]
	v_mul_f64 v[40:41], v[36:37], v[30:31]
	ds_read_b128 v[30:33], v42 offset:1024
	v_mul_f64 v[2:3], v[24:25], -v[2:3]
	v_fmac_f64_e32 v[2:3], v[4:5], v[22:23]
	v_mul_f64 v[36:37], v[36:37], v[2:3]
	ds_read_b128 v[2:5], v42 offset:2048
	s_waitcnt lgkmcnt(1)
	v_mul_f64 v[22:23], v[38:39], -v[32:33]
	v_mul_f64 v[24:25], v[38:39], v[30:31]
	v_fmac_f64_e32 v[22:23], v[30:31], v[34:35]
	v_fmac_f64_e32 v[24:25], v[32:33], v[34:35]
	v_add_f64 v[14:15], v[14:15], -v[22:23]
	v_add_f64 v[16:17], v[16:17], -v[24:25]
	v_mul_f64 v[22:23], v[36:37], -v[28:29]
	v_mul_f64 v[24:25], v[36:37], v[26:27]
	v_fmac_f64_e32 v[22:23], v[26:27], v[40:41]
	v_fmac_f64_e32 v[24:25], v[28:29], v[40:41]
	v_add_f64 v[14:15], v[14:15], -v[22:23]
	v_add_f64 v[16:17], v[16:17], -v[24:25]
	ds_read_b128 v[22:25], v43 offset:2048
	s_waitcnt lgkmcnt(1)
	v_mul_f64 v[26:27], v[38:39], -v[4:5]
	v_fmac_f64_e32 v[26:27], v[2:3], v[34:35]
	v_mul_f64 v[2:3], v[38:39], v[2:3]
	v_fmac_f64_e32 v[2:3], v[4:5], v[34:35]
	v_add_f64 v[18:19], v[18:19], -v[26:27]
	v_add_f64 v[20:21], v[20:21], -v[2:3]
	ds_read_b128 v[2:5], v43 offset:1024
	s_waitcnt lgkmcnt(1)
	v_mul_f64 v[26:27], v[36:37], -v[24:25]
	v_fmac_f64_e32 v[26:27], v[22:23], v[40:41]
	v_mul_f64 v[22:23], v[36:37], v[22:23]
	v_fmac_f64_e32 v[22:23], v[24:25], v[40:41]
	v_add_f64 v[20:21], v[20:21], -v[22:23]
	v_mul_f64 v[22:23], v[38:39], v[12:13]
	v_fma_f64 v[22:23], -v[10:11], v[34:35], v[22:23]
	v_mul_f64 v[10:11], v[38:39], -v[10:11]
	v_fma_f64 v[24:25], -v[12:13], v[34:35], v[10:11]
	s_waitcnt lgkmcnt(0)
	v_mul_f64 v[10:11], v[36:37], v[4:5]
	v_fma_f64 v[10:11], -v[2:3], v[40:41], v[10:11]
	v_mul_f64 v[2:3], v[36:37], -v[2:3]
	v_fma_f64 v[12:13], -v[4:5], v[40:41], v[2:3]
	v_sub_u32_e64 v2, v0, 2 clamp
	v_lshlrev_b32_e32 v42, 4, v2
	v_add_f64 v[18:19], v[18:19], -v[26:27]
	; wave barrier
	ds_write_b128 v9, v[14:17]
	ds_write_b128 v1, v[18:21] offset:2048
	ds_write_b128 v1, v[22:25]
	ds_write_b128 v8, v[10:13]
	s_waitcnt lgkmcnt(0)
	; wave barrier
	ds_read_b128 v[2:5], v42 offset:512
	ds_read_b128 v[10:13], v42
	v_add_u32_e32 v14, 2, v0
	v_min_i32_e32 v28, s0, v14
	ds_read_b128 v[14:17], v1
	s_waitcnt lgkmcnt(2)
	v_mul_f64 v[18:19], v[4:5], v[4:5]
	v_fmac_f64_e32 v[18:19], v[2:3], v[2:3]
	v_div_scale_f64 v[20:21], s[6:7], v[18:19], v[18:19], 1.0
	v_rcp_f64_e32 v[22:23], v[20:21]
	v_lshlrev_b32_e32 v43, 4, v28
	v_fma_f64 v[24:25], -v[20:21], v[22:23], 1.0
	v_fmac_f64_e32 v[22:23], v[22:23], v[24:25]
	v_fma_f64 v[24:25], -v[20:21], v[22:23], 1.0
	v_fmac_f64_e32 v[22:23], v[22:23], v[24:25]
	v_div_scale_f64 v[24:25], vcc, 1.0, v[18:19], 1.0
	v_mul_f64 v[26:27], v[24:25], v[22:23]
	v_fma_f64 v[20:21], -v[20:21], v[26:27], v[24:25]
	s_nop 1
	v_div_fmas_f64 v[20:21], v[20:21], v[22:23], v[26:27]
	ds_read_b128 v[22:25], v43 offset:512
	v_div_fixup_f64 v[30:31], v[20:21], v[18:19], 1.0
	ds_read_b128 v[18:21], v1 offset:2048
	s_waitcnt lgkmcnt(2)
	v_mul_f64 v[26:27], v[4:5], v[16:17]
	v_fmac_f64_e32 v[26:27], v[14:15], v[2:3]
	v_mul_f64 v[34:35], v[30:31], v[26:27]
	v_mul_f64 v[4:5], v[4:5], -v[14:15]
	ds_read_b128 v[26:29], v43
	s_waitcnt lgkmcnt(2)
	v_mul_f64 v[14:15], v[24:25], v[24:25]
	v_fmac_f64_e32 v[14:15], v[22:23], v[22:23]
	v_div_scale_f64 v[32:33], s[6:7], v[14:15], v[14:15], 1.0
	v_rcp_f64_e32 v[36:37], v[32:33]
	v_fmac_f64_e32 v[4:5], v[16:17], v[2:3]
	v_mul_f64 v[38:39], v[30:31], v[4:5]
	ds_read_b128 v[2:5], v8
	v_fma_f64 v[16:17], -v[32:33], v[36:37], 1.0
	v_fmac_f64_e32 v[36:37], v[36:37], v[16:17]
	v_fma_f64 v[16:17], -v[32:33], v[36:37], 1.0
	v_fmac_f64_e32 v[36:37], v[36:37], v[16:17]
	v_div_scale_f64 v[16:17], vcc, 1.0, v[14:15], 1.0
	v_mul_f64 v[30:31], v[16:17], v[36:37]
	v_fma_f64 v[16:17], -v[32:33], v[30:31], v[16:17]
	s_nop 1
	v_div_fmas_f64 v[16:17], v[16:17], v[36:37], v[30:31]
	v_div_fixup_f64 v[36:37], v[16:17], v[14:15], 1.0
	ds_read_b128 v[14:17], v9
	s_waitcnt lgkmcnt(1)
	v_mul_f64 v[30:31], v[24:25], v[4:5]
	v_fmac_f64_e32 v[30:31], v[2:3], v[22:23]
	v_mul_f64 v[40:41], v[36:37], v[30:31]
	ds_read_b128 v[30:33], v42 offset:1024
	v_mul_f64 v[2:3], v[24:25], -v[2:3]
	v_fmac_f64_e32 v[2:3], v[4:5], v[22:23]
	v_mul_f64 v[36:37], v[36:37], v[2:3]
	ds_read_b128 v[2:5], v42 offset:2048
	s_waitcnt lgkmcnt(1)
	v_mul_f64 v[22:23], v[38:39], -v[32:33]
	v_mul_f64 v[24:25], v[38:39], v[30:31]
	v_fmac_f64_e32 v[22:23], v[30:31], v[34:35]
	v_fmac_f64_e32 v[24:25], v[32:33], v[34:35]
	v_add_f64 v[14:15], v[14:15], -v[22:23]
	v_add_f64 v[16:17], v[16:17], -v[24:25]
	v_mul_f64 v[22:23], v[36:37], -v[28:29]
	v_mul_f64 v[24:25], v[36:37], v[26:27]
	v_fmac_f64_e32 v[22:23], v[26:27], v[40:41]
	v_fmac_f64_e32 v[24:25], v[28:29], v[40:41]
	v_add_f64 v[14:15], v[14:15], -v[22:23]
	v_add_f64 v[16:17], v[16:17], -v[24:25]
	ds_read_b128 v[22:25], v43 offset:2048
	s_waitcnt lgkmcnt(1)
	v_mul_f64 v[26:27], v[38:39], -v[4:5]
	v_fmac_f64_e32 v[26:27], v[2:3], v[34:35]
	v_mul_f64 v[2:3], v[38:39], v[2:3]
	v_fmac_f64_e32 v[2:3], v[4:5], v[34:35]
	v_add_f64 v[18:19], v[18:19], -v[26:27]
	v_add_f64 v[20:21], v[20:21], -v[2:3]
	ds_read_b128 v[2:5], v43 offset:1024
	s_waitcnt lgkmcnt(1)
	v_mul_f64 v[26:27], v[36:37], -v[24:25]
	v_fmac_f64_e32 v[26:27], v[22:23], v[40:41]
	v_mul_f64 v[22:23], v[36:37], v[22:23]
	v_fmac_f64_e32 v[22:23], v[24:25], v[40:41]
	v_add_f64 v[20:21], v[20:21], -v[22:23]
	v_mul_f64 v[22:23], v[38:39], v[12:13]
	v_fma_f64 v[22:23], -v[10:11], v[34:35], v[22:23]
	v_mul_f64 v[10:11], v[38:39], -v[10:11]
	v_fma_f64 v[24:25], -v[12:13], v[34:35], v[10:11]
	s_waitcnt lgkmcnt(0)
	v_mul_f64 v[10:11], v[36:37], v[4:5]
	v_fma_f64 v[10:11], -v[2:3], v[40:41], v[10:11]
	v_mul_f64 v[2:3], v[36:37], -v[2:3]
	v_fma_f64 v[12:13], -v[4:5], v[40:41], v[2:3]
	v_sub_u32_e64 v2, v0, 4 clamp
	v_lshlrev_b32_e32 v42, 4, v2
	v_add_f64 v[18:19], v[18:19], -v[26:27]
	; wave barrier
	ds_write_b128 v9, v[14:17]
	ds_write_b128 v1, v[18:21] offset:2048
	ds_write_b128 v1, v[22:25]
	ds_write_b128 v8, v[10:13]
	s_waitcnt lgkmcnt(0)
	; wave barrier
	ds_read_b128 v[2:5], v42 offset:512
	ds_read_b128 v[10:13], v42
	v_add_u32_e32 v14, 4, v0
	v_min_i32_e32 v28, s0, v14
	ds_read_b128 v[14:17], v1
	s_waitcnt lgkmcnt(2)
	v_mul_f64 v[18:19], v[4:5], v[4:5]
	v_fmac_f64_e32 v[18:19], v[2:3], v[2:3]
	v_div_scale_f64 v[20:21], s[6:7], v[18:19], v[18:19], 1.0
	v_rcp_f64_e32 v[22:23], v[20:21]
	v_lshlrev_b32_e32 v43, 4, v28
	v_fma_f64 v[24:25], -v[20:21], v[22:23], 1.0
	v_fmac_f64_e32 v[22:23], v[22:23], v[24:25]
	v_fma_f64 v[24:25], -v[20:21], v[22:23], 1.0
	v_fmac_f64_e32 v[22:23], v[22:23], v[24:25]
	v_div_scale_f64 v[24:25], vcc, 1.0, v[18:19], 1.0
	v_mul_f64 v[26:27], v[24:25], v[22:23]
	v_fma_f64 v[20:21], -v[20:21], v[26:27], v[24:25]
	s_nop 1
	v_div_fmas_f64 v[20:21], v[20:21], v[22:23], v[26:27]
	ds_read_b128 v[22:25], v43 offset:512
	v_div_fixup_f64 v[30:31], v[20:21], v[18:19], 1.0
	ds_read_b128 v[18:21], v1 offset:2048
	s_waitcnt lgkmcnt(2)
	v_mul_f64 v[26:27], v[4:5], v[16:17]
	v_fmac_f64_e32 v[26:27], v[14:15], v[2:3]
	v_mul_f64 v[34:35], v[30:31], v[26:27]
	v_mul_f64 v[4:5], v[4:5], -v[14:15]
	ds_read_b128 v[26:29], v43
	s_waitcnt lgkmcnt(2)
	v_mul_f64 v[14:15], v[24:25], v[24:25]
	v_fmac_f64_e32 v[14:15], v[22:23], v[22:23]
	v_div_scale_f64 v[32:33], s[6:7], v[14:15], v[14:15], 1.0
	v_rcp_f64_e32 v[36:37], v[32:33]
	v_fmac_f64_e32 v[4:5], v[16:17], v[2:3]
	v_mul_f64 v[38:39], v[30:31], v[4:5]
	ds_read_b128 v[2:5], v8
	v_fma_f64 v[16:17], -v[32:33], v[36:37], 1.0
	v_fmac_f64_e32 v[36:37], v[36:37], v[16:17]
	v_fma_f64 v[16:17], -v[32:33], v[36:37], 1.0
	v_fmac_f64_e32 v[36:37], v[36:37], v[16:17]
	v_div_scale_f64 v[16:17], vcc, 1.0, v[14:15], 1.0
	v_mul_f64 v[30:31], v[16:17], v[36:37]
	v_fma_f64 v[16:17], -v[32:33], v[30:31], v[16:17]
	s_nop 1
	v_div_fmas_f64 v[16:17], v[16:17], v[36:37], v[30:31]
	v_div_fixup_f64 v[36:37], v[16:17], v[14:15], 1.0
	ds_read_b128 v[14:17], v9
	s_waitcnt lgkmcnt(1)
	v_mul_f64 v[30:31], v[24:25], v[4:5]
	v_fmac_f64_e32 v[30:31], v[2:3], v[22:23]
	v_mul_f64 v[40:41], v[36:37], v[30:31]
	ds_read_b128 v[30:33], v42 offset:1024
	v_mul_f64 v[2:3], v[24:25], -v[2:3]
	v_fmac_f64_e32 v[2:3], v[4:5], v[22:23]
	v_mul_f64 v[36:37], v[36:37], v[2:3]
	ds_read_b128 v[2:5], v42 offset:2048
	s_waitcnt lgkmcnt(1)
	v_mul_f64 v[22:23], v[38:39], -v[32:33]
	v_mul_f64 v[24:25], v[38:39], v[30:31]
	v_fmac_f64_e32 v[22:23], v[30:31], v[34:35]
	v_fmac_f64_e32 v[24:25], v[32:33], v[34:35]
	v_add_f64 v[14:15], v[14:15], -v[22:23]
	v_add_f64 v[16:17], v[16:17], -v[24:25]
	v_mul_f64 v[22:23], v[36:37], -v[28:29]
	v_mul_f64 v[24:25], v[36:37], v[26:27]
	v_fmac_f64_e32 v[22:23], v[26:27], v[40:41]
	v_fmac_f64_e32 v[24:25], v[28:29], v[40:41]
	v_add_f64 v[14:15], v[14:15], -v[22:23]
	v_add_f64 v[16:17], v[16:17], -v[24:25]
	ds_read_b128 v[22:25], v43 offset:2048
	s_waitcnt lgkmcnt(1)
	v_mul_f64 v[26:27], v[38:39], -v[4:5]
	v_fmac_f64_e32 v[26:27], v[2:3], v[34:35]
	v_mul_f64 v[2:3], v[38:39], v[2:3]
	v_fmac_f64_e32 v[2:3], v[4:5], v[34:35]
	v_add_f64 v[18:19], v[18:19], -v[26:27]
	v_add_f64 v[20:21], v[20:21], -v[2:3]
	ds_read_b128 v[2:5], v43 offset:1024
	s_waitcnt lgkmcnt(1)
	v_mul_f64 v[26:27], v[36:37], -v[24:25]
	v_fmac_f64_e32 v[26:27], v[22:23], v[40:41]
	v_mul_f64 v[22:23], v[36:37], v[22:23]
	v_fmac_f64_e32 v[22:23], v[24:25], v[40:41]
	v_add_f64 v[20:21], v[20:21], -v[22:23]
	v_mul_f64 v[22:23], v[38:39], v[12:13]
	v_fma_f64 v[22:23], -v[10:11], v[34:35], v[22:23]
	v_mul_f64 v[10:11], v[38:39], -v[10:11]
	v_fma_f64 v[24:25], -v[12:13], v[34:35], v[10:11]
	s_waitcnt lgkmcnt(0)
	v_mul_f64 v[10:11], v[36:37], v[4:5]
	v_fma_f64 v[10:11], -v[2:3], v[40:41], v[10:11]
	v_mul_f64 v[2:3], v[36:37], -v[2:3]
	v_fma_f64 v[12:13], -v[4:5], v[40:41], v[2:3]
	v_sub_u32_e64 v2, v0, 8 clamp
	v_lshlrev_b32_e32 v42, 4, v2
	v_add_f64 v[18:19], v[18:19], -v[26:27]
	; wave barrier
	ds_write_b128 v9, v[14:17]
	ds_write_b128 v1, v[18:21] offset:2048
	ds_write_b128 v1, v[22:25]
	ds_write_b128 v8, v[10:13]
	s_waitcnt lgkmcnt(0)
	; wave barrier
	ds_read_b128 v[2:5], v42 offset:512
	ds_read_b128 v[10:13], v42
	v_add_u32_e32 v14, 8, v0
	v_min_i32_e32 v28, s0, v14
	ds_read_b128 v[14:17], v1
	s_waitcnt lgkmcnt(2)
	v_mul_f64 v[18:19], v[4:5], v[4:5]
	v_fmac_f64_e32 v[18:19], v[2:3], v[2:3]
	v_div_scale_f64 v[20:21], s[6:7], v[18:19], v[18:19], 1.0
	v_rcp_f64_e32 v[22:23], v[20:21]
	v_lshlrev_b32_e32 v43, 4, v28
	v_fma_f64 v[24:25], -v[20:21], v[22:23], 1.0
	v_fmac_f64_e32 v[22:23], v[22:23], v[24:25]
	v_fma_f64 v[24:25], -v[20:21], v[22:23], 1.0
	v_fmac_f64_e32 v[22:23], v[22:23], v[24:25]
	v_div_scale_f64 v[24:25], vcc, 1.0, v[18:19], 1.0
	v_mul_f64 v[26:27], v[24:25], v[22:23]
	v_fma_f64 v[20:21], -v[20:21], v[26:27], v[24:25]
	s_nop 1
	v_div_fmas_f64 v[20:21], v[20:21], v[22:23], v[26:27]
	ds_read_b128 v[22:25], v43 offset:512
	v_div_fixup_f64 v[30:31], v[20:21], v[18:19], 1.0
	ds_read_b128 v[18:21], v1 offset:2048
	s_waitcnt lgkmcnt(2)
	v_mul_f64 v[26:27], v[4:5], v[16:17]
	v_fmac_f64_e32 v[26:27], v[14:15], v[2:3]
	v_mul_f64 v[34:35], v[30:31], v[26:27]
	v_mul_f64 v[4:5], v[4:5], -v[14:15]
	ds_read_b128 v[26:29], v43
	s_waitcnt lgkmcnt(2)
	v_mul_f64 v[14:15], v[24:25], v[24:25]
	v_fmac_f64_e32 v[14:15], v[22:23], v[22:23]
	v_div_scale_f64 v[32:33], s[0:1], v[14:15], v[14:15], 1.0
	v_rcp_f64_e32 v[36:37], v[32:33]
	v_fmac_f64_e32 v[4:5], v[16:17], v[2:3]
	v_mul_f64 v[38:39], v[30:31], v[4:5]
	ds_read_b128 v[2:5], v8
	v_fma_f64 v[16:17], -v[32:33], v[36:37], 1.0
	v_fmac_f64_e32 v[36:37], v[36:37], v[16:17]
	v_fma_f64 v[16:17], -v[32:33], v[36:37], 1.0
	v_fmac_f64_e32 v[36:37], v[36:37], v[16:17]
	v_div_scale_f64 v[16:17], vcc, 1.0, v[14:15], 1.0
	v_mul_f64 v[30:31], v[16:17], v[36:37]
	v_fma_f64 v[16:17], -v[32:33], v[30:31], v[16:17]
	s_nop 1
	v_div_fmas_f64 v[16:17], v[16:17], v[36:37], v[30:31]
	v_div_fixup_f64 v[36:37], v[16:17], v[14:15], 1.0
	ds_read_b128 v[14:17], v9
	s_waitcnt lgkmcnt(1)
	v_mul_f64 v[30:31], v[24:25], v[4:5]
	v_fmac_f64_e32 v[30:31], v[2:3], v[22:23]
	v_mul_f64 v[40:41], v[36:37], v[30:31]
	ds_read_b128 v[30:33], v42 offset:1024
	v_mul_f64 v[2:3], v[24:25], -v[2:3]
	v_fmac_f64_e32 v[2:3], v[4:5], v[22:23]
	v_mul_f64 v[36:37], v[36:37], v[2:3]
	ds_read_b128 v[2:5], v42 offset:2048
	s_waitcnt lgkmcnt(1)
	v_mul_f64 v[22:23], v[38:39], -v[32:33]
	v_mul_f64 v[24:25], v[38:39], v[30:31]
	v_fmac_f64_e32 v[22:23], v[30:31], v[34:35]
	v_fmac_f64_e32 v[24:25], v[32:33], v[34:35]
	v_add_f64 v[14:15], v[14:15], -v[22:23]
	v_add_f64 v[16:17], v[16:17], -v[24:25]
	v_mul_f64 v[22:23], v[36:37], -v[28:29]
	v_mul_f64 v[24:25], v[36:37], v[26:27]
	v_fmac_f64_e32 v[22:23], v[26:27], v[40:41]
	v_fmac_f64_e32 v[24:25], v[28:29], v[40:41]
	v_add_f64 v[14:15], v[14:15], -v[22:23]
	v_add_f64 v[16:17], v[16:17], -v[24:25]
	ds_read_b128 v[22:25], v43 offset:2048
	s_waitcnt lgkmcnt(1)
	v_mul_f64 v[26:27], v[38:39], -v[4:5]
	v_fmac_f64_e32 v[26:27], v[2:3], v[34:35]
	v_mul_f64 v[2:3], v[38:39], v[2:3]
	v_fmac_f64_e32 v[2:3], v[4:5], v[34:35]
	v_add_f64 v[18:19], v[18:19], -v[26:27]
	v_add_f64 v[20:21], v[20:21], -v[2:3]
	ds_read_b128 v[2:5], v43 offset:1024
	s_waitcnt lgkmcnt(1)
	v_mul_f64 v[26:27], v[36:37], -v[24:25]
	v_fmac_f64_e32 v[26:27], v[22:23], v[40:41]
	v_mul_f64 v[22:23], v[36:37], v[22:23]
	v_fmac_f64_e32 v[22:23], v[24:25], v[40:41]
	v_add_f64 v[20:21], v[20:21], -v[22:23]
	v_mul_f64 v[22:23], v[38:39], v[12:13]
	v_fma_f64 v[22:23], -v[10:11], v[34:35], v[22:23]
	v_mul_f64 v[10:11], v[38:39], -v[10:11]
	v_fma_f64 v[24:25], -v[12:13], v[34:35], v[10:11]
	s_waitcnt lgkmcnt(0)
	v_mul_f64 v[10:11], v[36:37], v[4:5]
	v_fma_f64 v[10:11], -v[2:3], v[40:41], v[10:11]
	v_mul_f64 v[2:3], v[36:37], -v[2:3]
	v_cmp_gt_u32_e32 vcc, 16, v0
	v_add_f64 v[18:19], v[18:19], -v[26:27]
	v_fma_f64 v[12:13], -v[4:5], v[40:41], v[2:3]
	; wave barrier
	ds_write_b128 v9, v[14:17]
	ds_write_b128 v1, v[18:21] offset:2048
	ds_write_b128 v1, v[22:25]
	ds_write_b128 v8, v[10:13]
	s_waitcnt lgkmcnt(0)
	; wave barrier
	s_and_saveexec_b64 s[0:1], vcc
	s_cbranch_execz .LBB75_14
; %bb.9:
	v_or_b32_e32 v10, 16, v0
	v_or_b32_e32 v11, 0x800, v1
	v_cmp_le_i32_e32 vcc, s8, v10
                                        ; implicit-def: $vgpr4_vgpr5
	s_and_saveexec_b64 s[6:7], vcc
	s_xor_b64 s[6:7], exec, s[6:7]
	s_cbranch_execz .LBB75_11
; %bb.10:
	ds_read_b128 v[12:15], v9
	ds_read_b128 v[8:11], v11
	s_waitcnt lgkmcnt(1)
	v_mul_f64 v[2:3], v[14:15], v[14:15]
	v_fmac_f64_e32 v[2:3], v[12:13], v[12:13]
	v_div_scale_f64 v[16:17], s[8:9], v[2:3], v[2:3], 1.0
	v_rcp_f64_e32 v[18:19], v[16:17]
	v_div_scale_f64 v[20:21], vcc, 1.0, v[2:3], 1.0
	s_waitcnt lgkmcnt(0)
	v_mul_f64 v[4:5], v[14:15], v[10:11]
	v_fma_f64 v[22:23], -v[16:17], v[18:19], 1.0
	v_fmac_f64_e32 v[18:19], v[18:19], v[22:23]
	v_fma_f64 v[22:23], -v[16:17], v[18:19], 1.0
	v_fmac_f64_e32 v[18:19], v[18:19], v[22:23]
	v_mul_f64 v[22:23], v[20:21], v[18:19]
	v_fma_f64 v[16:17], -v[16:17], v[22:23], v[20:21]
	v_div_fmas_f64 v[16:17], v[16:17], v[18:19], v[22:23]
	v_fmac_f64_e32 v[4:5], v[8:9], v[12:13]
	v_div_fixup_f64 v[16:17], v[16:17], v[2:3], 1.0
	v_mul_f64 v[2:3], v[16:17], v[4:5]
	v_mul_f64 v[4:5], v[14:15], -v[8:9]
	v_fmac_f64_e32 v[4:5], v[10:11], v[12:13]
	v_mul_f64 v[4:5], v[16:17], v[4:5]
                                        ; implicit-def: $vgpr9
                                        ; implicit-def: $vgpr8
                                        ; implicit-def: $vgpr11
                                        ; implicit-def: $vgpr10
.LBB75_11:
	s_andn2_saveexec_b64 s[6:7], s[6:7]
	s_cbranch_execz .LBB75_13
; %bb.12:
	ds_read_b128 v[2:5], v9 offset:256
	ds_read_b128 v[12:15], v9
	ds_read_b128 v[16:19], v1 offset:256
	ds_read_b128 v[20:23], v8
	v_mov_b32_e32 v0, v10
	s_waitcnt lgkmcnt(2)
	v_mul_f64 v[24:25], v[14:15], v[2:3]
	v_mul_f64 v[8:9], v[14:15], -v[4:5]
	s_waitcnt lgkmcnt(0)
	v_mul_f64 v[28:29], v[18:19], v[20:21]
	v_fmac_f64_e32 v[24:25], v[4:5], v[12:13]
	v_mul_f64 v[26:27], v[18:19], -v[22:23]
	v_fmac_f64_e32 v[28:29], v[22:23], v[16:17]
	v_fmac_f64_e32 v[8:9], v[2:3], v[12:13]
	;; [unrolled: 1-line block ×3, first 2 shown]
	v_add_f64 v[28:29], v[24:25], -v[28:29]
	v_add_f64 v[8:9], v[8:9], -v[26:27]
	v_mul_f64 v[24:25], v[28:29], v[28:29]
	v_fmac_f64_e32 v[24:25], v[8:9], v[8:9]
	v_div_scale_f64 v[26:27], s[8:9], v[24:25], v[24:25], 1.0
	v_rcp_f64_e32 v[30:31], v[26:27]
	s_nop 0
	v_fma_f64 v[32:33], -v[26:27], v[30:31], 1.0
	v_fmac_f64_e32 v[30:31], v[30:31], v[32:33]
	v_fma_f64 v[32:33], -v[26:27], v[30:31], 1.0
	v_fmac_f64_e32 v[30:31], v[30:31], v[32:33]
	v_div_scale_f64 v[32:33], vcc, 1.0, v[24:25], 1.0
	v_mul_f64 v[34:35], v[32:33], v[30:31]
	v_fma_f64 v[26:27], -v[26:27], v[34:35], v[32:33]
	v_fma_f64 v[32:33], 0, v[28:29], v[8:9]
	s_nop 0
	v_div_fmas_f64 v[26:27], v[26:27], v[30:31], v[34:35]
	v_div_fixup_f64 v[30:31], v[26:27], v[24:25], 1.0
	ds_read_b128 v[24:27], v11
	v_fma_f64 v[8:9], v[8:9], 0, -v[28:29]
	v_mul_f64 v[32:33], v[32:33], v[30:31]
	v_mul_f64 v[8:9], v[8:9], v[30:31]
	ds_read_b128 v[28:31], v11 offset:256
	s_waitcnt lgkmcnt(1)
	v_mul_f64 v[34:35], v[26:27], -v[4:5]
	v_fmac_f64_e32 v[34:35], v[2:3], v[24:25]
	v_mul_f64 v[2:3], v[2:3], v[26:27]
	v_fmac_f64_e32 v[2:3], v[4:5], v[24:25]
	s_waitcnt lgkmcnt(0)
	v_mul_f64 v[4:5], v[30:31], -v[22:23]
	v_fmac_f64_e32 v[4:5], v[20:21], v[28:29]
	v_mul_f64 v[20:21], v[20:21], v[30:31]
	v_fmac_f64_e32 v[20:21], v[22:23], v[28:29]
	v_add_f64 v[20:21], v[2:3], -v[20:21]
	v_add_f64 v[4:5], v[34:35], -v[4:5]
	v_mul_f64 v[2:3], v[8:9], -v[20:21]
	v_fmac_f64_e32 v[2:3], v[4:5], v[32:33]
	v_mul_f64 v[4:5], v[8:9], v[4:5]
	v_fmac_f64_e32 v[4:5], v[20:21], v[32:33]
	ds_write_b128 v1, v[2:5] offset:1536
	v_mul_f64 v[2:3], v[14:15], -v[30:31]
	v_mul_f64 v[4:5], v[14:15], v[28:29]
	v_fmac_f64_e32 v[2:3], v[28:29], v[12:13]
	v_fmac_f64_e32 v[4:5], v[30:31], v[12:13]
	v_mul_f64 v[12:13], v[18:19], -v[26:27]
	v_mul_f64 v[14:15], v[18:19], v[24:25]
	v_fmac_f64_e32 v[12:13], v[24:25], v[16:17]
	v_fmac_f64_e32 v[14:15], v[26:27], v[16:17]
	v_add_f64 v[12:13], v[2:3], -v[12:13]
	v_add_f64 v[14:15], v[4:5], -v[14:15]
	v_mul_f64 v[2:3], v[8:9], -v[14:15]
	v_mul_f64 v[4:5], v[8:9], v[12:13]
	v_fmac_f64_e32 v[2:3], v[12:13], v[32:33]
	v_fmac_f64_e32 v[4:5], v[14:15], v[32:33]
.LBB75_13:
	s_or_b64 exec, exec, s[6:7]
	v_lshlrev_b32_e32 v0, 4, v0
	ds_write_b128 v0, v[2:5] offset:1536
.LBB75_14:
	s_or_b64 exec, exec, s[0:1]
	s_waitcnt lgkmcnt(0)
	; wave barrier
	s_and_saveexec_b64 s[0:1], s[2:3]
	s_cbranch_execz .LBB75_16
; %bb.15:
	ds_read2_b64 v[0:3], v1 offset0:192 offset1:193
	v_lshl_add_u64 v[4:5], v[6:7], 4, s[4:5]
	s_waitcnt lgkmcnt(0)
	global_store_dwordx4 v[4:5], v[0:3], off
.LBB75_16:
	s_endpgm
	.section	.rodata,"a",@progbits
	.p2align	6, 0x0
	.amdhsa_kernel _ZN9rocsparseL44gtsv_nopivot_strided_batch_pcr_shared_kernelILj32E21rocsparse_complex_numIdEEEviiiPKT0_S5_S5_PS3_
		.amdhsa_group_segment_fixed_size 2560
		.amdhsa_private_segment_fixed_size 0
		.amdhsa_kernarg_size 48
		.amdhsa_user_sgpr_count 2
		.amdhsa_user_sgpr_dispatch_ptr 0
		.amdhsa_user_sgpr_queue_ptr 0
		.amdhsa_user_sgpr_kernarg_segment_ptr 1
		.amdhsa_user_sgpr_dispatch_id 0
		.amdhsa_user_sgpr_kernarg_preload_length 0
		.amdhsa_user_sgpr_kernarg_preload_offset 0
		.amdhsa_user_sgpr_private_segment_size 0
		.amdhsa_uses_dynamic_stack 0
		.amdhsa_enable_private_segment 0
		.amdhsa_system_sgpr_workgroup_id_x 1
		.amdhsa_system_sgpr_workgroup_id_y 0
		.amdhsa_system_sgpr_workgroup_id_z 0
		.amdhsa_system_sgpr_workgroup_info 0
		.amdhsa_system_vgpr_workitem_id 0
		.amdhsa_next_free_vgpr 44
		.amdhsa_next_free_sgpr 10
		.amdhsa_accum_offset 44
		.amdhsa_reserve_vcc 1
		.amdhsa_float_round_mode_32 0
		.amdhsa_float_round_mode_16_64 0
		.amdhsa_float_denorm_mode_32 3
		.amdhsa_float_denorm_mode_16_64 3
		.amdhsa_dx10_clamp 1
		.amdhsa_ieee_mode 1
		.amdhsa_fp16_overflow 0
		.amdhsa_tg_split 0
		.amdhsa_exception_fp_ieee_invalid_op 0
		.amdhsa_exception_fp_denorm_src 0
		.amdhsa_exception_fp_ieee_div_zero 0
		.amdhsa_exception_fp_ieee_overflow 0
		.amdhsa_exception_fp_ieee_underflow 0
		.amdhsa_exception_fp_ieee_inexact 0
		.amdhsa_exception_int_div_zero 0
	.end_amdhsa_kernel
	.section	.text._ZN9rocsparseL44gtsv_nopivot_strided_batch_pcr_shared_kernelILj32E21rocsparse_complex_numIdEEEviiiPKT0_S5_S5_PS3_,"axG",@progbits,_ZN9rocsparseL44gtsv_nopivot_strided_batch_pcr_shared_kernelILj32E21rocsparse_complex_numIdEEEviiiPKT0_S5_S5_PS3_,comdat
.Lfunc_end75:
	.size	_ZN9rocsparseL44gtsv_nopivot_strided_batch_pcr_shared_kernelILj32E21rocsparse_complex_numIdEEEviiiPKT0_S5_S5_PS3_, .Lfunc_end75-_ZN9rocsparseL44gtsv_nopivot_strided_batch_pcr_shared_kernelILj32E21rocsparse_complex_numIdEEEviiiPKT0_S5_S5_PS3_
                                        ; -- End function
	.set _ZN9rocsparseL44gtsv_nopivot_strided_batch_pcr_shared_kernelILj32E21rocsparse_complex_numIdEEEviiiPKT0_S5_S5_PS3_.num_vgpr, 44
	.set _ZN9rocsparseL44gtsv_nopivot_strided_batch_pcr_shared_kernelILj32E21rocsparse_complex_numIdEEEviiiPKT0_S5_S5_PS3_.num_agpr, 0
	.set _ZN9rocsparseL44gtsv_nopivot_strided_batch_pcr_shared_kernelILj32E21rocsparse_complex_numIdEEEviiiPKT0_S5_S5_PS3_.numbered_sgpr, 10
	.set _ZN9rocsparseL44gtsv_nopivot_strided_batch_pcr_shared_kernelILj32E21rocsparse_complex_numIdEEEviiiPKT0_S5_S5_PS3_.num_named_barrier, 0
	.set _ZN9rocsparseL44gtsv_nopivot_strided_batch_pcr_shared_kernelILj32E21rocsparse_complex_numIdEEEviiiPKT0_S5_S5_PS3_.private_seg_size, 0
	.set _ZN9rocsparseL44gtsv_nopivot_strided_batch_pcr_shared_kernelILj32E21rocsparse_complex_numIdEEEviiiPKT0_S5_S5_PS3_.uses_vcc, 1
	.set _ZN9rocsparseL44gtsv_nopivot_strided_batch_pcr_shared_kernelILj32E21rocsparse_complex_numIdEEEviiiPKT0_S5_S5_PS3_.uses_flat_scratch, 0
	.set _ZN9rocsparseL44gtsv_nopivot_strided_batch_pcr_shared_kernelILj32E21rocsparse_complex_numIdEEEviiiPKT0_S5_S5_PS3_.has_dyn_sized_stack, 0
	.set _ZN9rocsparseL44gtsv_nopivot_strided_batch_pcr_shared_kernelILj32E21rocsparse_complex_numIdEEEviiiPKT0_S5_S5_PS3_.has_recursion, 0
	.set _ZN9rocsparseL44gtsv_nopivot_strided_batch_pcr_shared_kernelILj32E21rocsparse_complex_numIdEEEviiiPKT0_S5_S5_PS3_.has_indirect_call, 0
	.section	.AMDGPU.csdata,"",@progbits
; Kernel info:
; codeLenInByte = 3720
; TotalNumSgprs: 16
; NumVgprs: 44
; NumAgprs: 0
; TotalNumVgprs: 44
; ScratchSize: 0
; MemoryBound: 1
; FloatMode: 240
; IeeeMode: 1
; LDSByteSize: 2560 bytes/workgroup (compile time only)
; SGPRBlocks: 1
; VGPRBlocks: 5
; NumSGPRsForWavesPerEU: 16
; NumVGPRsForWavesPerEU: 44
; AccumOffset: 44
; Occupancy: 8
; WaveLimiterHint : 0
; COMPUTE_PGM_RSRC2:SCRATCH_EN: 0
; COMPUTE_PGM_RSRC2:USER_SGPR: 2
; COMPUTE_PGM_RSRC2:TRAP_HANDLER: 0
; COMPUTE_PGM_RSRC2:TGID_X_EN: 1
; COMPUTE_PGM_RSRC2:TGID_Y_EN: 0
; COMPUTE_PGM_RSRC2:TGID_Z_EN: 0
; COMPUTE_PGM_RSRC2:TIDIG_COMP_CNT: 0
; COMPUTE_PGM_RSRC3_GFX90A:ACCUM_OFFSET: 10
; COMPUTE_PGM_RSRC3_GFX90A:TG_SPLIT: 0
	.section	.text._ZN9rocsparseL44gtsv_nopivot_strided_batch_pcr_shared_kernelILj64E21rocsparse_complex_numIdEEEviiiPKT0_S5_S5_PS3_,"axG",@progbits,_ZN9rocsparseL44gtsv_nopivot_strided_batch_pcr_shared_kernelILj64E21rocsparse_complex_numIdEEEviiiPKT0_S5_S5_PS3_,comdat
	.globl	_ZN9rocsparseL44gtsv_nopivot_strided_batch_pcr_shared_kernelILj64E21rocsparse_complex_numIdEEEviiiPKT0_S5_S5_PS3_ ; -- Begin function _ZN9rocsparseL44gtsv_nopivot_strided_batch_pcr_shared_kernelILj64E21rocsparse_complex_numIdEEEviiiPKT0_S5_S5_PS3_
	.p2align	8
	.type	_ZN9rocsparseL44gtsv_nopivot_strided_batch_pcr_shared_kernelILj64E21rocsparse_complex_numIdEEEviiiPKT0_S5_S5_PS3_,@function
_ZN9rocsparseL44gtsv_nopivot_strided_batch_pcr_shared_kernelILj64E21rocsparse_complex_numIdEEEviiiPKT0_S5_S5_PS3_: ; @_ZN9rocsparseL44gtsv_nopivot_strided_batch_pcr_shared_kernelILj64E21rocsparse_complex_numIdEEEviiiPKT0_S5_S5_PS3_
; %bb.0:
	s_load_dword s3, s[0:1], 0x8
	s_load_dword s8, s[0:1], 0x0
	v_mov_b64_e32 v[2:3], 0
	v_mov_b64_e32 v[8:9], 0
	;; [unrolled: 1-line block ×3, first 2 shown]
	s_waitcnt lgkmcnt(0)
	s_mul_i32 s4, s3, s2
	v_add_u32_e32 v6, s4, v0
	v_cmp_gt_i32_e64 s[2:3], s8, v0
	v_ashrrev_i32_e32 v7, 31, v6
	s_and_saveexec_b64 s[4:5], s[2:3]
	s_cbranch_execz .LBB76_2
; %bb.1:
	s_load_dwordx2 s[6:7], s[0:1], 0x10
	s_waitcnt lgkmcnt(0)
	v_lshl_add_u64 v[4:5], v[6:7], 4, s[6:7]
	global_load_dwordx4 v[8:11], v[4:5], off
.LBB76_2:
	s_or_b64 exec, exec, s[4:5]
	v_lshlrev_b32_e32 v1, 4, v0
	v_mov_b64_e32 v[4:5], 0
	s_waitcnt vmcnt(0)
	ds_write_b128 v1, v[8:11]
	s_and_saveexec_b64 s[4:5], s[2:3]
	s_cbranch_execz .LBB76_4
; %bb.3:
	s_load_dwordx2 s[6:7], s[0:1], 0x18
	s_waitcnt lgkmcnt(0)
	v_lshl_add_u64 v[2:3], v[6:7], 4, s[6:7]
	global_load_dwordx4 v[2:5], v[2:3], off
.LBB76_4:
	s_or_b64 exec, exec, s[4:5]
	s_load_dwordx2 s[4:5], s[0:1], 0x28
	s_waitcnt vmcnt(0)
	ds_write_b128 v1, v[2:5] offset:1024
	v_mov_b64_e32 v[2:3], 0
	v_mov_b64_e32 v[10:11], 0
	;; [unrolled: 1-line block ×3, first 2 shown]
	s_and_saveexec_b64 s[6:7], s[2:3]
	s_cbranch_execz .LBB76_6
; %bb.5:
	s_load_dwordx2 s[0:1], s[0:1], 0x20
	s_waitcnt lgkmcnt(0)
	v_lshl_add_u64 v[4:5], v[6:7], 4, s[0:1]
	global_load_dwordx4 v[10:13], v[4:5], off
.LBB76_6:
	s_or_b64 exec, exec, s[6:7]
	v_or_b32_e32 v9, 0x400, v1
	v_or_b32_e32 v8, 0x800, v1
	v_mov_b64_e32 v[4:5], 0
	s_waitcnt vmcnt(0)
	ds_write_b128 v1, v[10:13] offset:2048
	s_and_saveexec_b64 s[0:1], s[2:3]
	s_cbranch_execz .LBB76_8
; %bb.7:
	s_waitcnt lgkmcnt(0)
	v_lshl_add_u64 v[2:3], v[6:7], 4, s[4:5]
	global_load_dwordx4 v[2:5], v[2:3], off
.LBB76_8:
	s_or_b64 exec, exec, s[0:1]
	s_waitcnt vmcnt(0)
	ds_write_b128 v1, v[2:5] offset:4096
	v_sub_u32_e64 v2, v0, 1 clamp
	v_lshlrev_b32_e32 v42, 4, v2
	s_waitcnt lgkmcnt(0)
	; wave barrier
	ds_read_b128 v[2:5], v42 offset:1024
	ds_read_b128 v[10:13], v42
	s_add_i32 s0, s8, -1
	v_add_u32_e32 v14, 1, v0
	v_min_i32_e32 v28, s0, v14
	s_waitcnt lgkmcnt(1)
	v_mul_f64 v[18:19], v[4:5], v[4:5]
	v_fmac_f64_e32 v[18:19], v[2:3], v[2:3]
	v_div_scale_f64 v[20:21], s[6:7], v[18:19], v[18:19], 1.0
	v_rcp_f64_e32 v[22:23], v[20:21]
	ds_read_b128 v[14:17], v1
	v_lshlrev_b32_e32 v43, 4, v28
	v_fma_f64 v[24:25], -v[20:21], v[22:23], 1.0
	v_fmac_f64_e32 v[22:23], v[22:23], v[24:25]
	v_fma_f64 v[24:25], -v[20:21], v[22:23], 1.0
	v_fmac_f64_e32 v[22:23], v[22:23], v[24:25]
	v_div_scale_f64 v[24:25], vcc, 1.0, v[18:19], 1.0
	v_mul_f64 v[26:27], v[24:25], v[22:23]
	v_fma_f64 v[20:21], -v[20:21], v[26:27], v[24:25]
	s_nop 1
	v_div_fmas_f64 v[20:21], v[20:21], v[22:23], v[26:27]
	ds_read_b128 v[22:25], v43 offset:1024
	v_div_fixup_f64 v[30:31], v[20:21], v[18:19], 1.0
	ds_read_b128 v[18:21], v9
	s_waitcnt lgkmcnt(2)
	v_mul_f64 v[26:27], v[4:5], v[16:17]
	v_fmac_f64_e32 v[26:27], v[14:15], v[2:3]
	v_mul_f64 v[34:35], v[30:31], v[26:27]
	v_mul_f64 v[4:5], v[4:5], -v[14:15]
	ds_read_b128 v[26:29], v43
	s_waitcnt lgkmcnt(2)
	v_mul_f64 v[14:15], v[24:25], v[24:25]
	v_fmac_f64_e32 v[14:15], v[22:23], v[22:23]
	v_div_scale_f64 v[32:33], s[6:7], v[14:15], v[14:15], 1.0
	v_rcp_f64_e32 v[36:37], v[32:33]
	v_fmac_f64_e32 v[4:5], v[16:17], v[2:3]
	v_mul_f64 v[38:39], v[30:31], v[4:5]
	ds_read_b128 v[2:5], v8
	v_fma_f64 v[16:17], -v[32:33], v[36:37], 1.0
	v_fmac_f64_e32 v[36:37], v[36:37], v[16:17]
	v_fma_f64 v[16:17], -v[32:33], v[36:37], 1.0
	v_fmac_f64_e32 v[36:37], v[36:37], v[16:17]
	v_div_scale_f64 v[16:17], vcc, 1.0, v[14:15], 1.0
	v_mul_f64 v[30:31], v[16:17], v[36:37]
	v_fma_f64 v[16:17], -v[32:33], v[30:31], v[16:17]
	s_nop 1
	v_div_fmas_f64 v[16:17], v[16:17], v[36:37], v[30:31]
	v_div_fixup_f64 v[36:37], v[16:17], v[14:15], 1.0
	ds_read_b128 v[14:17], v1 offset:4096
	s_waitcnt lgkmcnt(1)
	v_mul_f64 v[30:31], v[24:25], v[4:5]
	v_fmac_f64_e32 v[30:31], v[2:3], v[22:23]
	v_mul_f64 v[40:41], v[36:37], v[30:31]
	ds_read_b128 v[30:33], v42 offset:2048
	v_mul_f64 v[2:3], v[24:25], -v[2:3]
	v_fmac_f64_e32 v[2:3], v[4:5], v[22:23]
	v_mul_f64 v[36:37], v[36:37], v[2:3]
	ds_read_b128 v[2:5], v42 offset:4096
	s_waitcnt lgkmcnt(1)
	v_mul_f64 v[22:23], v[38:39], -v[32:33]
	v_mul_f64 v[24:25], v[38:39], v[30:31]
	v_fmac_f64_e32 v[22:23], v[30:31], v[34:35]
	v_fmac_f64_e32 v[24:25], v[32:33], v[34:35]
	v_add_f64 v[18:19], v[18:19], -v[22:23]
	v_add_f64 v[20:21], v[20:21], -v[24:25]
	v_mul_f64 v[22:23], v[36:37], -v[28:29]
	v_mul_f64 v[24:25], v[36:37], v[26:27]
	v_fmac_f64_e32 v[22:23], v[26:27], v[40:41]
	v_fmac_f64_e32 v[24:25], v[28:29], v[40:41]
	v_add_f64 v[18:19], v[18:19], -v[22:23]
	v_add_f64 v[20:21], v[20:21], -v[24:25]
	ds_read_b128 v[22:25], v43 offset:4096
	s_waitcnt lgkmcnt(1)
	v_mul_f64 v[26:27], v[38:39], -v[4:5]
	v_fmac_f64_e32 v[26:27], v[2:3], v[34:35]
	v_mul_f64 v[2:3], v[38:39], v[2:3]
	v_fmac_f64_e32 v[2:3], v[4:5], v[34:35]
	v_add_f64 v[14:15], v[14:15], -v[26:27]
	v_add_f64 v[16:17], v[16:17], -v[2:3]
	ds_read_b128 v[2:5], v43 offset:2048
	s_waitcnt lgkmcnt(1)
	v_mul_f64 v[26:27], v[36:37], -v[24:25]
	v_fmac_f64_e32 v[26:27], v[22:23], v[40:41]
	v_mul_f64 v[22:23], v[36:37], v[22:23]
	v_fmac_f64_e32 v[22:23], v[24:25], v[40:41]
	v_add_f64 v[16:17], v[16:17], -v[22:23]
	v_mul_f64 v[22:23], v[38:39], v[12:13]
	v_fma_f64 v[22:23], -v[10:11], v[34:35], v[22:23]
	v_mul_f64 v[10:11], v[38:39], -v[10:11]
	v_fma_f64 v[24:25], -v[12:13], v[34:35], v[10:11]
	s_waitcnt lgkmcnt(0)
	v_mul_f64 v[10:11], v[36:37], v[4:5]
	v_fma_f64 v[10:11], -v[2:3], v[40:41], v[10:11]
	v_mul_f64 v[2:3], v[36:37], -v[2:3]
	v_fma_f64 v[12:13], -v[4:5], v[40:41], v[2:3]
	v_sub_u32_e64 v2, v0, 2 clamp
	v_lshlrev_b32_e32 v42, 4, v2
	v_add_f64 v[14:15], v[14:15], -v[26:27]
	; wave barrier
	ds_write_b128 v9, v[18:21]
	ds_write_b128 v1, v[14:17] offset:4096
	ds_write_b128 v1, v[22:25]
	ds_write_b128 v8, v[10:13]
	s_waitcnt lgkmcnt(0)
	; wave barrier
	ds_read_b128 v[2:5], v42 offset:1024
	ds_read_b128 v[10:13], v42
	v_add_u32_e32 v14, 2, v0
	v_min_i32_e32 v28, s0, v14
	ds_read_b128 v[14:17], v1
	s_waitcnt lgkmcnt(2)
	v_mul_f64 v[18:19], v[4:5], v[4:5]
	v_fmac_f64_e32 v[18:19], v[2:3], v[2:3]
	v_div_scale_f64 v[20:21], s[6:7], v[18:19], v[18:19], 1.0
	v_rcp_f64_e32 v[22:23], v[20:21]
	v_lshlrev_b32_e32 v43, 4, v28
	v_fma_f64 v[24:25], -v[20:21], v[22:23], 1.0
	v_fmac_f64_e32 v[22:23], v[22:23], v[24:25]
	v_fma_f64 v[24:25], -v[20:21], v[22:23], 1.0
	v_fmac_f64_e32 v[22:23], v[22:23], v[24:25]
	v_div_scale_f64 v[24:25], vcc, 1.0, v[18:19], 1.0
	v_mul_f64 v[26:27], v[24:25], v[22:23]
	v_fma_f64 v[20:21], -v[20:21], v[26:27], v[24:25]
	s_nop 1
	v_div_fmas_f64 v[20:21], v[20:21], v[22:23], v[26:27]
	ds_read_b128 v[22:25], v43 offset:1024
	v_div_fixup_f64 v[30:31], v[20:21], v[18:19], 1.0
	ds_read_b128 v[18:21], v9
	s_waitcnt lgkmcnt(2)
	v_mul_f64 v[26:27], v[4:5], v[16:17]
	v_fmac_f64_e32 v[26:27], v[14:15], v[2:3]
	v_mul_f64 v[34:35], v[30:31], v[26:27]
	v_mul_f64 v[4:5], v[4:5], -v[14:15]
	ds_read_b128 v[26:29], v43
	s_waitcnt lgkmcnt(2)
	v_mul_f64 v[14:15], v[24:25], v[24:25]
	v_fmac_f64_e32 v[14:15], v[22:23], v[22:23]
	v_div_scale_f64 v[32:33], s[6:7], v[14:15], v[14:15], 1.0
	v_rcp_f64_e32 v[36:37], v[32:33]
	v_fmac_f64_e32 v[4:5], v[16:17], v[2:3]
	v_mul_f64 v[38:39], v[30:31], v[4:5]
	ds_read_b128 v[2:5], v8
	v_fma_f64 v[16:17], -v[32:33], v[36:37], 1.0
	v_fmac_f64_e32 v[36:37], v[36:37], v[16:17]
	v_fma_f64 v[16:17], -v[32:33], v[36:37], 1.0
	v_fmac_f64_e32 v[36:37], v[36:37], v[16:17]
	v_div_scale_f64 v[16:17], vcc, 1.0, v[14:15], 1.0
	v_mul_f64 v[30:31], v[16:17], v[36:37]
	v_fma_f64 v[16:17], -v[32:33], v[30:31], v[16:17]
	s_nop 1
	v_div_fmas_f64 v[16:17], v[16:17], v[36:37], v[30:31]
	v_div_fixup_f64 v[36:37], v[16:17], v[14:15], 1.0
	ds_read_b128 v[14:17], v1 offset:4096
	s_waitcnt lgkmcnt(1)
	v_mul_f64 v[30:31], v[24:25], v[4:5]
	v_fmac_f64_e32 v[30:31], v[2:3], v[22:23]
	v_mul_f64 v[40:41], v[36:37], v[30:31]
	ds_read_b128 v[30:33], v42 offset:2048
	v_mul_f64 v[2:3], v[24:25], -v[2:3]
	v_fmac_f64_e32 v[2:3], v[4:5], v[22:23]
	v_mul_f64 v[36:37], v[36:37], v[2:3]
	ds_read_b128 v[2:5], v42 offset:4096
	s_waitcnt lgkmcnt(1)
	v_mul_f64 v[22:23], v[38:39], -v[32:33]
	v_mul_f64 v[24:25], v[38:39], v[30:31]
	v_fmac_f64_e32 v[22:23], v[30:31], v[34:35]
	v_fmac_f64_e32 v[24:25], v[32:33], v[34:35]
	v_add_f64 v[18:19], v[18:19], -v[22:23]
	v_add_f64 v[20:21], v[20:21], -v[24:25]
	v_mul_f64 v[22:23], v[36:37], -v[28:29]
	v_mul_f64 v[24:25], v[36:37], v[26:27]
	v_fmac_f64_e32 v[22:23], v[26:27], v[40:41]
	v_fmac_f64_e32 v[24:25], v[28:29], v[40:41]
	v_add_f64 v[18:19], v[18:19], -v[22:23]
	v_add_f64 v[20:21], v[20:21], -v[24:25]
	ds_read_b128 v[22:25], v43 offset:4096
	s_waitcnt lgkmcnt(1)
	v_mul_f64 v[26:27], v[38:39], -v[4:5]
	v_fmac_f64_e32 v[26:27], v[2:3], v[34:35]
	v_mul_f64 v[2:3], v[38:39], v[2:3]
	v_fmac_f64_e32 v[2:3], v[4:5], v[34:35]
	v_add_f64 v[14:15], v[14:15], -v[26:27]
	v_add_f64 v[16:17], v[16:17], -v[2:3]
	ds_read_b128 v[2:5], v43 offset:2048
	s_waitcnt lgkmcnt(1)
	v_mul_f64 v[26:27], v[36:37], -v[24:25]
	v_fmac_f64_e32 v[26:27], v[22:23], v[40:41]
	v_mul_f64 v[22:23], v[36:37], v[22:23]
	v_fmac_f64_e32 v[22:23], v[24:25], v[40:41]
	v_add_f64 v[16:17], v[16:17], -v[22:23]
	v_mul_f64 v[22:23], v[38:39], v[12:13]
	v_fma_f64 v[22:23], -v[10:11], v[34:35], v[22:23]
	v_mul_f64 v[10:11], v[38:39], -v[10:11]
	v_fma_f64 v[24:25], -v[12:13], v[34:35], v[10:11]
	s_waitcnt lgkmcnt(0)
	v_mul_f64 v[10:11], v[36:37], v[4:5]
	v_fma_f64 v[10:11], -v[2:3], v[40:41], v[10:11]
	v_mul_f64 v[2:3], v[36:37], -v[2:3]
	v_fma_f64 v[12:13], -v[4:5], v[40:41], v[2:3]
	v_sub_u32_e64 v2, v0, 4 clamp
	v_lshlrev_b32_e32 v42, 4, v2
	v_add_f64 v[14:15], v[14:15], -v[26:27]
	; wave barrier
	ds_write_b128 v9, v[18:21]
	ds_write_b128 v1, v[14:17] offset:4096
	ds_write_b128 v1, v[22:25]
	ds_write_b128 v8, v[10:13]
	s_waitcnt lgkmcnt(0)
	; wave barrier
	ds_read_b128 v[2:5], v42 offset:1024
	ds_read_b128 v[10:13], v42
	v_add_u32_e32 v14, 4, v0
	v_min_i32_e32 v28, s0, v14
	ds_read_b128 v[14:17], v1
	s_waitcnt lgkmcnt(2)
	v_mul_f64 v[18:19], v[4:5], v[4:5]
	v_fmac_f64_e32 v[18:19], v[2:3], v[2:3]
	v_div_scale_f64 v[20:21], s[6:7], v[18:19], v[18:19], 1.0
	v_rcp_f64_e32 v[22:23], v[20:21]
	v_lshlrev_b32_e32 v43, 4, v28
	v_fma_f64 v[24:25], -v[20:21], v[22:23], 1.0
	v_fmac_f64_e32 v[22:23], v[22:23], v[24:25]
	v_fma_f64 v[24:25], -v[20:21], v[22:23], 1.0
	v_fmac_f64_e32 v[22:23], v[22:23], v[24:25]
	v_div_scale_f64 v[24:25], vcc, 1.0, v[18:19], 1.0
	v_mul_f64 v[26:27], v[24:25], v[22:23]
	v_fma_f64 v[20:21], -v[20:21], v[26:27], v[24:25]
	s_nop 1
	v_div_fmas_f64 v[20:21], v[20:21], v[22:23], v[26:27]
	ds_read_b128 v[22:25], v43 offset:1024
	v_div_fixup_f64 v[30:31], v[20:21], v[18:19], 1.0
	ds_read_b128 v[18:21], v9
	s_waitcnt lgkmcnt(2)
	v_mul_f64 v[26:27], v[4:5], v[16:17]
	v_fmac_f64_e32 v[26:27], v[14:15], v[2:3]
	v_mul_f64 v[34:35], v[30:31], v[26:27]
	v_mul_f64 v[4:5], v[4:5], -v[14:15]
	ds_read_b128 v[26:29], v43
	s_waitcnt lgkmcnt(2)
	v_mul_f64 v[14:15], v[24:25], v[24:25]
	v_fmac_f64_e32 v[14:15], v[22:23], v[22:23]
	v_div_scale_f64 v[32:33], s[6:7], v[14:15], v[14:15], 1.0
	v_rcp_f64_e32 v[36:37], v[32:33]
	v_fmac_f64_e32 v[4:5], v[16:17], v[2:3]
	v_mul_f64 v[38:39], v[30:31], v[4:5]
	ds_read_b128 v[2:5], v8
	v_fma_f64 v[16:17], -v[32:33], v[36:37], 1.0
	v_fmac_f64_e32 v[36:37], v[36:37], v[16:17]
	v_fma_f64 v[16:17], -v[32:33], v[36:37], 1.0
	v_fmac_f64_e32 v[36:37], v[36:37], v[16:17]
	v_div_scale_f64 v[16:17], vcc, 1.0, v[14:15], 1.0
	v_mul_f64 v[30:31], v[16:17], v[36:37]
	v_fma_f64 v[16:17], -v[32:33], v[30:31], v[16:17]
	s_nop 1
	v_div_fmas_f64 v[16:17], v[16:17], v[36:37], v[30:31]
	v_div_fixup_f64 v[36:37], v[16:17], v[14:15], 1.0
	ds_read_b128 v[14:17], v1 offset:4096
	s_waitcnt lgkmcnt(1)
	v_mul_f64 v[30:31], v[24:25], v[4:5]
	v_fmac_f64_e32 v[30:31], v[2:3], v[22:23]
	v_mul_f64 v[40:41], v[36:37], v[30:31]
	ds_read_b128 v[30:33], v42 offset:2048
	v_mul_f64 v[2:3], v[24:25], -v[2:3]
	v_fmac_f64_e32 v[2:3], v[4:5], v[22:23]
	v_mul_f64 v[36:37], v[36:37], v[2:3]
	ds_read_b128 v[2:5], v42 offset:4096
	s_waitcnt lgkmcnt(1)
	v_mul_f64 v[22:23], v[38:39], -v[32:33]
	v_mul_f64 v[24:25], v[38:39], v[30:31]
	v_fmac_f64_e32 v[22:23], v[30:31], v[34:35]
	v_fmac_f64_e32 v[24:25], v[32:33], v[34:35]
	v_add_f64 v[18:19], v[18:19], -v[22:23]
	v_add_f64 v[20:21], v[20:21], -v[24:25]
	v_mul_f64 v[22:23], v[36:37], -v[28:29]
	v_mul_f64 v[24:25], v[36:37], v[26:27]
	v_fmac_f64_e32 v[22:23], v[26:27], v[40:41]
	v_fmac_f64_e32 v[24:25], v[28:29], v[40:41]
	v_add_f64 v[18:19], v[18:19], -v[22:23]
	v_add_f64 v[20:21], v[20:21], -v[24:25]
	ds_read_b128 v[22:25], v43 offset:4096
	s_waitcnt lgkmcnt(1)
	v_mul_f64 v[26:27], v[38:39], -v[4:5]
	v_fmac_f64_e32 v[26:27], v[2:3], v[34:35]
	v_mul_f64 v[2:3], v[38:39], v[2:3]
	v_fmac_f64_e32 v[2:3], v[4:5], v[34:35]
	v_add_f64 v[14:15], v[14:15], -v[26:27]
	v_add_f64 v[16:17], v[16:17], -v[2:3]
	ds_read_b128 v[2:5], v43 offset:2048
	s_waitcnt lgkmcnt(1)
	v_mul_f64 v[26:27], v[36:37], -v[24:25]
	v_fmac_f64_e32 v[26:27], v[22:23], v[40:41]
	v_mul_f64 v[22:23], v[36:37], v[22:23]
	v_fmac_f64_e32 v[22:23], v[24:25], v[40:41]
	v_add_f64 v[16:17], v[16:17], -v[22:23]
	v_mul_f64 v[22:23], v[38:39], v[12:13]
	v_fma_f64 v[22:23], -v[10:11], v[34:35], v[22:23]
	v_mul_f64 v[10:11], v[38:39], -v[10:11]
	v_fma_f64 v[24:25], -v[12:13], v[34:35], v[10:11]
	s_waitcnt lgkmcnt(0)
	v_mul_f64 v[10:11], v[36:37], v[4:5]
	v_fma_f64 v[10:11], -v[2:3], v[40:41], v[10:11]
	v_mul_f64 v[2:3], v[36:37], -v[2:3]
	v_fma_f64 v[12:13], -v[4:5], v[40:41], v[2:3]
	v_sub_u32_e64 v2, v0, 8 clamp
	v_lshlrev_b32_e32 v42, 4, v2
	v_add_f64 v[14:15], v[14:15], -v[26:27]
	; wave barrier
	ds_write_b128 v9, v[18:21]
	ds_write_b128 v1, v[14:17] offset:4096
	ds_write_b128 v1, v[22:25]
	ds_write_b128 v8, v[10:13]
	s_waitcnt lgkmcnt(0)
	; wave barrier
	ds_read_b128 v[2:5], v42 offset:1024
	ds_read_b128 v[10:13], v42
	v_add_u32_e32 v14, 8, v0
	v_min_i32_e32 v28, s0, v14
	ds_read_b128 v[14:17], v1
	s_waitcnt lgkmcnt(2)
	v_mul_f64 v[18:19], v[4:5], v[4:5]
	v_fmac_f64_e32 v[18:19], v[2:3], v[2:3]
	v_div_scale_f64 v[20:21], s[6:7], v[18:19], v[18:19], 1.0
	v_rcp_f64_e32 v[22:23], v[20:21]
	v_lshlrev_b32_e32 v43, 4, v28
	v_fma_f64 v[24:25], -v[20:21], v[22:23], 1.0
	v_fmac_f64_e32 v[22:23], v[22:23], v[24:25]
	v_fma_f64 v[24:25], -v[20:21], v[22:23], 1.0
	v_fmac_f64_e32 v[22:23], v[22:23], v[24:25]
	v_div_scale_f64 v[24:25], vcc, 1.0, v[18:19], 1.0
	v_mul_f64 v[26:27], v[24:25], v[22:23]
	v_fma_f64 v[20:21], -v[20:21], v[26:27], v[24:25]
	s_nop 1
	v_div_fmas_f64 v[20:21], v[20:21], v[22:23], v[26:27]
	ds_read_b128 v[22:25], v43 offset:1024
	v_div_fixup_f64 v[30:31], v[20:21], v[18:19], 1.0
	ds_read_b128 v[18:21], v9
	s_waitcnt lgkmcnt(2)
	v_mul_f64 v[26:27], v[4:5], v[16:17]
	v_fmac_f64_e32 v[26:27], v[14:15], v[2:3]
	v_mul_f64 v[34:35], v[30:31], v[26:27]
	v_mul_f64 v[4:5], v[4:5], -v[14:15]
	ds_read_b128 v[26:29], v43
	s_waitcnt lgkmcnt(2)
	v_mul_f64 v[14:15], v[24:25], v[24:25]
	v_fmac_f64_e32 v[14:15], v[22:23], v[22:23]
	v_div_scale_f64 v[32:33], s[6:7], v[14:15], v[14:15], 1.0
	v_rcp_f64_e32 v[36:37], v[32:33]
	v_fmac_f64_e32 v[4:5], v[16:17], v[2:3]
	v_mul_f64 v[38:39], v[30:31], v[4:5]
	ds_read_b128 v[2:5], v8
	v_fma_f64 v[16:17], -v[32:33], v[36:37], 1.0
	v_fmac_f64_e32 v[36:37], v[36:37], v[16:17]
	v_fma_f64 v[16:17], -v[32:33], v[36:37], 1.0
	v_fmac_f64_e32 v[36:37], v[36:37], v[16:17]
	v_div_scale_f64 v[16:17], vcc, 1.0, v[14:15], 1.0
	v_mul_f64 v[30:31], v[16:17], v[36:37]
	v_fma_f64 v[16:17], -v[32:33], v[30:31], v[16:17]
	s_nop 1
	v_div_fmas_f64 v[16:17], v[16:17], v[36:37], v[30:31]
	v_div_fixup_f64 v[36:37], v[16:17], v[14:15], 1.0
	ds_read_b128 v[14:17], v1 offset:4096
	s_waitcnt lgkmcnt(1)
	v_mul_f64 v[30:31], v[24:25], v[4:5]
	v_fmac_f64_e32 v[30:31], v[2:3], v[22:23]
	v_mul_f64 v[40:41], v[36:37], v[30:31]
	ds_read_b128 v[30:33], v42 offset:2048
	v_mul_f64 v[2:3], v[24:25], -v[2:3]
	v_fmac_f64_e32 v[2:3], v[4:5], v[22:23]
	v_mul_f64 v[36:37], v[36:37], v[2:3]
	ds_read_b128 v[2:5], v42 offset:4096
	s_waitcnt lgkmcnt(1)
	v_mul_f64 v[22:23], v[38:39], -v[32:33]
	v_mul_f64 v[24:25], v[38:39], v[30:31]
	v_fmac_f64_e32 v[22:23], v[30:31], v[34:35]
	v_fmac_f64_e32 v[24:25], v[32:33], v[34:35]
	v_add_f64 v[18:19], v[18:19], -v[22:23]
	v_add_f64 v[20:21], v[20:21], -v[24:25]
	v_mul_f64 v[22:23], v[36:37], -v[28:29]
	v_mul_f64 v[24:25], v[36:37], v[26:27]
	v_fmac_f64_e32 v[22:23], v[26:27], v[40:41]
	v_fmac_f64_e32 v[24:25], v[28:29], v[40:41]
	v_add_f64 v[18:19], v[18:19], -v[22:23]
	v_add_f64 v[20:21], v[20:21], -v[24:25]
	ds_read_b128 v[22:25], v43 offset:4096
	s_waitcnt lgkmcnt(1)
	v_mul_f64 v[26:27], v[38:39], -v[4:5]
	v_fmac_f64_e32 v[26:27], v[2:3], v[34:35]
	v_mul_f64 v[2:3], v[38:39], v[2:3]
	v_fmac_f64_e32 v[2:3], v[4:5], v[34:35]
	v_add_f64 v[14:15], v[14:15], -v[26:27]
	v_add_f64 v[16:17], v[16:17], -v[2:3]
	ds_read_b128 v[2:5], v43 offset:2048
	s_waitcnt lgkmcnt(1)
	v_mul_f64 v[26:27], v[36:37], -v[24:25]
	v_fmac_f64_e32 v[26:27], v[22:23], v[40:41]
	v_mul_f64 v[22:23], v[36:37], v[22:23]
	v_fmac_f64_e32 v[22:23], v[24:25], v[40:41]
	v_add_f64 v[16:17], v[16:17], -v[22:23]
	v_mul_f64 v[22:23], v[38:39], v[12:13]
	v_fma_f64 v[22:23], -v[10:11], v[34:35], v[22:23]
	v_mul_f64 v[10:11], v[38:39], -v[10:11]
	v_fma_f64 v[24:25], -v[12:13], v[34:35], v[10:11]
	s_waitcnt lgkmcnt(0)
	v_mul_f64 v[10:11], v[36:37], v[4:5]
	v_fma_f64 v[10:11], -v[2:3], v[40:41], v[10:11]
	v_mul_f64 v[2:3], v[36:37], -v[2:3]
	v_fma_f64 v[12:13], -v[4:5], v[40:41], v[2:3]
	v_sub_u32_e64 v2, v0, 16 clamp
	v_lshlrev_b32_e32 v42, 4, v2
	v_add_f64 v[14:15], v[14:15], -v[26:27]
	; wave barrier
	ds_write_b128 v9, v[18:21]
	ds_write_b128 v1, v[14:17] offset:4096
	ds_write_b128 v1, v[22:25]
	ds_write_b128 v8, v[10:13]
	s_waitcnt lgkmcnt(0)
	; wave barrier
	ds_read_b128 v[2:5], v42 offset:1024
	ds_read_b128 v[10:13], v42
	v_add_u32_e32 v14, 16, v0
	v_min_i32_e32 v28, s0, v14
	ds_read_b128 v[14:17], v1
	s_waitcnt lgkmcnt(2)
	v_mul_f64 v[18:19], v[4:5], v[4:5]
	v_fmac_f64_e32 v[18:19], v[2:3], v[2:3]
	v_div_scale_f64 v[20:21], s[6:7], v[18:19], v[18:19], 1.0
	v_rcp_f64_e32 v[22:23], v[20:21]
	v_lshlrev_b32_e32 v43, 4, v28
	v_fma_f64 v[24:25], -v[20:21], v[22:23], 1.0
	v_fmac_f64_e32 v[22:23], v[22:23], v[24:25]
	v_fma_f64 v[24:25], -v[20:21], v[22:23], 1.0
	v_fmac_f64_e32 v[22:23], v[22:23], v[24:25]
	v_div_scale_f64 v[24:25], vcc, 1.0, v[18:19], 1.0
	v_mul_f64 v[26:27], v[24:25], v[22:23]
	v_fma_f64 v[20:21], -v[20:21], v[26:27], v[24:25]
	s_nop 1
	v_div_fmas_f64 v[20:21], v[20:21], v[22:23], v[26:27]
	ds_read_b128 v[22:25], v43 offset:1024
	v_div_fixup_f64 v[30:31], v[20:21], v[18:19], 1.0
	ds_read_b128 v[18:21], v9
	s_waitcnt lgkmcnt(2)
	v_mul_f64 v[26:27], v[4:5], v[16:17]
	v_fmac_f64_e32 v[26:27], v[14:15], v[2:3]
	v_mul_f64 v[34:35], v[30:31], v[26:27]
	v_mul_f64 v[4:5], v[4:5], -v[14:15]
	ds_read_b128 v[26:29], v43
	s_waitcnt lgkmcnt(2)
	v_mul_f64 v[14:15], v[24:25], v[24:25]
	v_fmac_f64_e32 v[14:15], v[22:23], v[22:23]
	v_div_scale_f64 v[32:33], s[0:1], v[14:15], v[14:15], 1.0
	v_rcp_f64_e32 v[36:37], v[32:33]
	v_fmac_f64_e32 v[4:5], v[16:17], v[2:3]
	v_mul_f64 v[38:39], v[30:31], v[4:5]
	ds_read_b128 v[2:5], v8
	v_fma_f64 v[16:17], -v[32:33], v[36:37], 1.0
	v_fmac_f64_e32 v[36:37], v[36:37], v[16:17]
	v_fma_f64 v[16:17], -v[32:33], v[36:37], 1.0
	v_fmac_f64_e32 v[36:37], v[36:37], v[16:17]
	v_div_scale_f64 v[16:17], vcc, 1.0, v[14:15], 1.0
	v_mul_f64 v[30:31], v[16:17], v[36:37]
	v_fma_f64 v[16:17], -v[32:33], v[30:31], v[16:17]
	s_nop 1
	v_div_fmas_f64 v[16:17], v[16:17], v[36:37], v[30:31]
	v_div_fixup_f64 v[36:37], v[16:17], v[14:15], 1.0
	ds_read_b128 v[14:17], v1 offset:4096
	s_waitcnt lgkmcnt(1)
	v_mul_f64 v[30:31], v[24:25], v[4:5]
	v_fmac_f64_e32 v[30:31], v[2:3], v[22:23]
	v_mul_f64 v[40:41], v[36:37], v[30:31]
	ds_read_b128 v[30:33], v42 offset:2048
	v_mul_f64 v[2:3], v[24:25], -v[2:3]
	v_fmac_f64_e32 v[2:3], v[4:5], v[22:23]
	v_mul_f64 v[36:37], v[36:37], v[2:3]
	ds_read_b128 v[2:5], v42 offset:4096
	s_waitcnt lgkmcnt(1)
	v_mul_f64 v[22:23], v[38:39], -v[32:33]
	v_mul_f64 v[24:25], v[38:39], v[30:31]
	v_fmac_f64_e32 v[22:23], v[30:31], v[34:35]
	v_fmac_f64_e32 v[24:25], v[32:33], v[34:35]
	v_add_f64 v[18:19], v[18:19], -v[22:23]
	v_add_f64 v[20:21], v[20:21], -v[24:25]
	v_mul_f64 v[22:23], v[36:37], -v[28:29]
	v_mul_f64 v[24:25], v[36:37], v[26:27]
	v_fmac_f64_e32 v[22:23], v[26:27], v[40:41]
	v_fmac_f64_e32 v[24:25], v[28:29], v[40:41]
	v_add_f64 v[18:19], v[18:19], -v[22:23]
	v_add_f64 v[20:21], v[20:21], -v[24:25]
	ds_read_b128 v[22:25], v43 offset:4096
	s_waitcnt lgkmcnt(1)
	v_mul_f64 v[26:27], v[38:39], -v[4:5]
	v_fmac_f64_e32 v[26:27], v[2:3], v[34:35]
	v_mul_f64 v[2:3], v[38:39], v[2:3]
	v_fmac_f64_e32 v[2:3], v[4:5], v[34:35]
	v_add_f64 v[14:15], v[14:15], -v[26:27]
	v_add_f64 v[16:17], v[16:17], -v[2:3]
	ds_read_b128 v[2:5], v43 offset:2048
	s_waitcnt lgkmcnt(1)
	v_mul_f64 v[26:27], v[36:37], -v[24:25]
	v_fmac_f64_e32 v[26:27], v[22:23], v[40:41]
	v_mul_f64 v[22:23], v[36:37], v[22:23]
	v_fmac_f64_e32 v[22:23], v[24:25], v[40:41]
	v_add_f64 v[16:17], v[16:17], -v[22:23]
	v_mul_f64 v[22:23], v[38:39], v[12:13]
	v_fma_f64 v[22:23], -v[10:11], v[34:35], v[22:23]
	v_mul_f64 v[10:11], v[38:39], -v[10:11]
	v_fma_f64 v[24:25], -v[12:13], v[34:35], v[10:11]
	s_waitcnt lgkmcnt(0)
	v_mul_f64 v[10:11], v[36:37], v[4:5]
	v_fma_f64 v[10:11], -v[2:3], v[40:41], v[10:11]
	v_mul_f64 v[2:3], v[36:37], -v[2:3]
	v_cmp_gt_u32_e32 vcc, 32, v0
	v_add_f64 v[14:15], v[14:15], -v[26:27]
	v_fma_f64 v[12:13], -v[4:5], v[40:41], v[2:3]
	; wave barrier
	ds_write_b128 v9, v[18:21]
	ds_write_b128 v1, v[14:17] offset:4096
	ds_write_b128 v1, v[22:25]
	ds_write_b128 v8, v[10:13]
	s_waitcnt lgkmcnt(0)
	; wave barrier
	s_and_saveexec_b64 s[0:1], vcc
	s_cbranch_execz .LBB76_14
; %bb.9:
	v_or_b32_e32 v10, 32, v0
	v_or_b32_e32 v11, 0x1000, v1
	v_cmp_le_i32_e32 vcc, s8, v10
                                        ; implicit-def: $vgpr4_vgpr5
	s_and_saveexec_b64 s[6:7], vcc
	s_xor_b64 s[6:7], exec, s[6:7]
	s_cbranch_execz .LBB76_11
; %bb.10:
	ds_read_b128 v[12:15], v9
	ds_read_b128 v[8:11], v11
                                        ; implicit-def: $vgpr1
	s_waitcnt lgkmcnt(1)
	v_mul_f64 v[2:3], v[14:15], v[14:15]
	v_fmac_f64_e32 v[2:3], v[12:13], v[12:13]
	v_div_scale_f64 v[16:17], s[8:9], v[2:3], v[2:3], 1.0
	v_rcp_f64_e32 v[18:19], v[16:17]
	v_div_scale_f64 v[20:21], vcc, 1.0, v[2:3], 1.0
	s_waitcnt lgkmcnt(0)
	v_mul_f64 v[4:5], v[14:15], v[10:11]
	v_fma_f64 v[22:23], -v[16:17], v[18:19], 1.0
	v_fmac_f64_e32 v[18:19], v[18:19], v[22:23]
	v_fma_f64 v[22:23], -v[16:17], v[18:19], 1.0
	v_fmac_f64_e32 v[18:19], v[18:19], v[22:23]
	v_mul_f64 v[22:23], v[20:21], v[18:19]
	v_fma_f64 v[16:17], -v[16:17], v[22:23], v[20:21]
	v_div_fmas_f64 v[16:17], v[16:17], v[18:19], v[22:23]
	v_fmac_f64_e32 v[4:5], v[8:9], v[12:13]
	v_div_fixup_f64 v[16:17], v[16:17], v[2:3], 1.0
	v_mul_f64 v[2:3], v[16:17], v[4:5]
	v_mul_f64 v[4:5], v[14:15], -v[8:9]
	v_fmac_f64_e32 v[4:5], v[10:11], v[12:13]
	v_mul_f64 v[4:5], v[16:17], v[4:5]
                                        ; implicit-def: $vgpr9
                                        ; implicit-def: $vgpr8
                                        ; implicit-def: $vgpr11
                                        ; implicit-def: $vgpr10
.LBB76_11:
	s_or_saveexec_b64 s[6:7], s[6:7]
	v_mov_b32_e32 v12, v0
	s_xor_b64 exec, exec, s[6:7]
	s_cbranch_execz .LBB76_13
; %bb.12:
	ds_read_b128 v[2:5], v9
	ds_read_b128 v[12:15], v9 offset:512
	ds_read_b128 v[16:19], v1 offset:512
	ds_read_b128 v[20:23], v8
	s_waitcnt lgkmcnt(2)
	v_mul_f64 v[24:25], v[4:5], v[12:13]
	v_mul_f64 v[8:9], v[4:5], -v[14:15]
	s_waitcnt lgkmcnt(0)
	v_mul_f64 v[28:29], v[18:19], v[20:21]
	v_fmac_f64_e32 v[24:25], v[14:15], v[2:3]
	v_mul_f64 v[26:27], v[18:19], -v[22:23]
	v_fmac_f64_e32 v[28:29], v[22:23], v[16:17]
	v_fmac_f64_e32 v[8:9], v[12:13], v[2:3]
	;; [unrolled: 1-line block ×3, first 2 shown]
	v_add_f64 v[28:29], v[24:25], -v[28:29]
	v_add_f64 v[8:9], v[8:9], -v[26:27]
	v_mul_f64 v[24:25], v[28:29], v[28:29]
	v_fmac_f64_e32 v[24:25], v[8:9], v[8:9]
	v_div_scale_f64 v[26:27], s[8:9], v[24:25], v[24:25], 1.0
	v_rcp_f64_e32 v[30:31], v[26:27]
	s_nop 0
	v_fma_f64 v[32:33], -v[26:27], v[30:31], 1.0
	v_fmac_f64_e32 v[30:31], v[30:31], v[32:33]
	v_fma_f64 v[32:33], -v[26:27], v[30:31], 1.0
	v_fmac_f64_e32 v[30:31], v[30:31], v[32:33]
	v_div_scale_f64 v[32:33], vcc, 1.0, v[24:25], 1.0
	v_mul_f64 v[34:35], v[32:33], v[30:31]
	v_fma_f64 v[26:27], -v[26:27], v[34:35], v[32:33]
	v_fma_f64 v[32:33], 0, v[28:29], v[8:9]
	s_nop 0
	v_div_fmas_f64 v[26:27], v[26:27], v[30:31], v[34:35]
	v_div_fixup_f64 v[30:31], v[26:27], v[24:25], 1.0
	ds_read_b128 v[24:27], v11
	v_fma_f64 v[8:9], v[8:9], 0, -v[28:29]
	v_mul_f64 v[32:33], v[32:33], v[30:31]
	v_mul_f64 v[8:9], v[8:9], v[30:31]
	ds_read_b128 v[28:31], v11 offset:512
	s_waitcnt lgkmcnt(1)
	v_mul_f64 v[34:35], v[26:27], -v[14:15]
	v_fmac_f64_e32 v[34:35], v[12:13], v[24:25]
	v_mul_f64 v[12:13], v[12:13], v[26:27]
	v_fmac_f64_e32 v[12:13], v[14:15], v[24:25]
	s_waitcnt lgkmcnt(0)
	v_mul_f64 v[14:15], v[30:31], -v[22:23]
	v_fmac_f64_e32 v[14:15], v[20:21], v[28:29]
	v_mul_f64 v[20:21], v[20:21], v[30:31]
	v_fmac_f64_e32 v[20:21], v[22:23], v[28:29]
	v_add_f64 v[20:21], v[12:13], -v[20:21]
	v_add_f64 v[14:15], v[34:35], -v[14:15]
	v_mul_f64 v[12:13], v[8:9], -v[20:21]
	v_fmac_f64_e32 v[12:13], v[14:15], v[32:33]
	v_mul_f64 v[14:15], v[8:9], v[14:15]
	v_fmac_f64_e32 v[14:15], v[20:21], v[32:33]
	ds_write_b128 v1, v[12:15] offset:3072
	v_mul_f64 v[12:13], v[4:5], -v[30:31]
	v_mul_f64 v[4:5], v[4:5], v[28:29]
	v_fmac_f64_e32 v[12:13], v[28:29], v[2:3]
	v_fmac_f64_e32 v[4:5], v[30:31], v[2:3]
	v_mul_f64 v[2:3], v[18:19], -v[26:27]
	v_mul_f64 v[14:15], v[18:19], v[24:25]
	v_fmac_f64_e32 v[2:3], v[24:25], v[16:17]
	v_fmac_f64_e32 v[14:15], v[26:27], v[16:17]
	v_add_f64 v[12:13], v[12:13], -v[2:3]
	v_add_f64 v[14:15], v[4:5], -v[14:15]
	v_mul_f64 v[2:3], v[8:9], -v[14:15]
	v_mul_f64 v[4:5], v[8:9], v[12:13]
	v_fmac_f64_e32 v[2:3], v[12:13], v[32:33]
	v_fmac_f64_e32 v[4:5], v[14:15], v[32:33]
	v_mov_b32_e32 v12, v10
.LBB76_13:
	s_or_b64 exec, exec, s[6:7]
	v_lshlrev_b32_e32 v1, 4, v12
	ds_write_b128 v1, v[2:5] offset:3072
.LBB76_14:
	s_or_b64 exec, exec, s[0:1]
	s_waitcnt lgkmcnt(0)
	; wave barrier
	s_and_saveexec_b64 s[0:1], s[2:3]
	s_cbranch_execz .LBB76_16
; %bb.15:
	v_mov_b32_e32 v1, 0xc00
	v_lshl_or_b32 v0, v0, 4, v1
	ds_read2_b64 v[0:3], v0 offset1:1
	v_lshl_add_u64 v[4:5], v[6:7], 4, s[4:5]
	s_waitcnt lgkmcnt(0)
	global_store_dwordx4 v[4:5], v[0:3], off
.LBB76_16:
	s_endpgm
	.section	.rodata,"a",@progbits
	.p2align	6, 0x0
	.amdhsa_kernel _ZN9rocsparseL44gtsv_nopivot_strided_batch_pcr_shared_kernelILj64E21rocsparse_complex_numIdEEEviiiPKT0_S5_S5_PS3_
		.amdhsa_group_segment_fixed_size 5120
		.amdhsa_private_segment_fixed_size 0
		.amdhsa_kernarg_size 48
		.amdhsa_user_sgpr_count 2
		.amdhsa_user_sgpr_dispatch_ptr 0
		.amdhsa_user_sgpr_queue_ptr 0
		.amdhsa_user_sgpr_kernarg_segment_ptr 1
		.amdhsa_user_sgpr_dispatch_id 0
		.amdhsa_user_sgpr_kernarg_preload_length 0
		.amdhsa_user_sgpr_kernarg_preload_offset 0
		.amdhsa_user_sgpr_private_segment_size 0
		.amdhsa_uses_dynamic_stack 0
		.amdhsa_enable_private_segment 0
		.amdhsa_system_sgpr_workgroup_id_x 1
		.amdhsa_system_sgpr_workgroup_id_y 0
		.amdhsa_system_sgpr_workgroup_id_z 0
		.amdhsa_system_sgpr_workgroup_info 0
		.amdhsa_system_vgpr_workitem_id 0
		.amdhsa_next_free_vgpr 44
		.amdhsa_next_free_sgpr 10
		.amdhsa_accum_offset 44
		.amdhsa_reserve_vcc 1
		.amdhsa_float_round_mode_32 0
		.amdhsa_float_round_mode_16_64 0
		.amdhsa_float_denorm_mode_32 3
		.amdhsa_float_denorm_mode_16_64 3
		.amdhsa_dx10_clamp 1
		.amdhsa_ieee_mode 1
		.amdhsa_fp16_overflow 0
		.amdhsa_tg_split 0
		.amdhsa_exception_fp_ieee_invalid_op 0
		.amdhsa_exception_fp_denorm_src 0
		.amdhsa_exception_fp_ieee_div_zero 0
		.amdhsa_exception_fp_ieee_overflow 0
		.amdhsa_exception_fp_ieee_underflow 0
		.amdhsa_exception_fp_ieee_inexact 0
		.amdhsa_exception_int_div_zero 0
	.end_amdhsa_kernel
	.section	.text._ZN9rocsparseL44gtsv_nopivot_strided_batch_pcr_shared_kernelILj64E21rocsparse_complex_numIdEEEviiiPKT0_S5_S5_PS3_,"axG",@progbits,_ZN9rocsparseL44gtsv_nopivot_strided_batch_pcr_shared_kernelILj64E21rocsparse_complex_numIdEEEviiiPKT0_S5_S5_PS3_,comdat
.Lfunc_end76:
	.size	_ZN9rocsparseL44gtsv_nopivot_strided_batch_pcr_shared_kernelILj64E21rocsparse_complex_numIdEEEviiiPKT0_S5_S5_PS3_, .Lfunc_end76-_ZN9rocsparseL44gtsv_nopivot_strided_batch_pcr_shared_kernelILj64E21rocsparse_complex_numIdEEEviiiPKT0_S5_S5_PS3_
                                        ; -- End function
	.set _ZN9rocsparseL44gtsv_nopivot_strided_batch_pcr_shared_kernelILj64E21rocsparse_complex_numIdEEEviiiPKT0_S5_S5_PS3_.num_vgpr, 44
	.set _ZN9rocsparseL44gtsv_nopivot_strided_batch_pcr_shared_kernelILj64E21rocsparse_complex_numIdEEEviiiPKT0_S5_S5_PS3_.num_agpr, 0
	.set _ZN9rocsparseL44gtsv_nopivot_strided_batch_pcr_shared_kernelILj64E21rocsparse_complex_numIdEEEviiiPKT0_S5_S5_PS3_.numbered_sgpr, 10
	.set _ZN9rocsparseL44gtsv_nopivot_strided_batch_pcr_shared_kernelILj64E21rocsparse_complex_numIdEEEviiiPKT0_S5_S5_PS3_.num_named_barrier, 0
	.set _ZN9rocsparseL44gtsv_nopivot_strided_batch_pcr_shared_kernelILj64E21rocsparse_complex_numIdEEEviiiPKT0_S5_S5_PS3_.private_seg_size, 0
	.set _ZN9rocsparseL44gtsv_nopivot_strided_batch_pcr_shared_kernelILj64E21rocsparse_complex_numIdEEEviiiPKT0_S5_S5_PS3_.uses_vcc, 1
	.set _ZN9rocsparseL44gtsv_nopivot_strided_batch_pcr_shared_kernelILj64E21rocsparse_complex_numIdEEEviiiPKT0_S5_S5_PS3_.uses_flat_scratch, 0
	.set _ZN9rocsparseL44gtsv_nopivot_strided_batch_pcr_shared_kernelILj64E21rocsparse_complex_numIdEEEviiiPKT0_S5_S5_PS3_.has_dyn_sized_stack, 0
	.set _ZN9rocsparseL44gtsv_nopivot_strided_batch_pcr_shared_kernelILj64E21rocsparse_complex_numIdEEEviiiPKT0_S5_S5_PS3_.has_recursion, 0
	.set _ZN9rocsparseL44gtsv_nopivot_strided_batch_pcr_shared_kernelILj64E21rocsparse_complex_numIdEEEviiiPKT0_S5_S5_PS3_.has_indirect_call, 0
	.section	.AMDGPU.csdata,"",@progbits
; Kernel info:
; codeLenInByte = 4420
; TotalNumSgprs: 16
; NumVgprs: 44
; NumAgprs: 0
; TotalNumVgprs: 44
; ScratchSize: 0
; MemoryBound: 1
; FloatMode: 240
; IeeeMode: 1
; LDSByteSize: 5120 bytes/workgroup (compile time only)
; SGPRBlocks: 1
; VGPRBlocks: 5
; NumSGPRsForWavesPerEU: 16
; NumVGPRsForWavesPerEU: 44
; AccumOffset: 44
; Occupancy: 8
; WaveLimiterHint : 0
; COMPUTE_PGM_RSRC2:SCRATCH_EN: 0
; COMPUTE_PGM_RSRC2:USER_SGPR: 2
; COMPUTE_PGM_RSRC2:TRAP_HANDLER: 0
; COMPUTE_PGM_RSRC2:TGID_X_EN: 1
; COMPUTE_PGM_RSRC2:TGID_Y_EN: 0
; COMPUTE_PGM_RSRC2:TGID_Z_EN: 0
; COMPUTE_PGM_RSRC2:TIDIG_COMP_CNT: 0
; COMPUTE_PGM_RSRC3_GFX90A:ACCUM_OFFSET: 10
; COMPUTE_PGM_RSRC3_GFX90A:TG_SPLIT: 0
	.section	.text._ZN9rocsparseL44gtsv_nopivot_strided_batch_pcr_shared_kernelILj128E21rocsparse_complex_numIdEEEviiiPKT0_S5_S5_PS3_,"axG",@progbits,_ZN9rocsparseL44gtsv_nopivot_strided_batch_pcr_shared_kernelILj128E21rocsparse_complex_numIdEEEviiiPKT0_S5_S5_PS3_,comdat
	.globl	_ZN9rocsparseL44gtsv_nopivot_strided_batch_pcr_shared_kernelILj128E21rocsparse_complex_numIdEEEviiiPKT0_S5_S5_PS3_ ; -- Begin function _ZN9rocsparseL44gtsv_nopivot_strided_batch_pcr_shared_kernelILj128E21rocsparse_complex_numIdEEEviiiPKT0_S5_S5_PS3_
	.p2align	8
	.type	_ZN9rocsparseL44gtsv_nopivot_strided_batch_pcr_shared_kernelILj128E21rocsparse_complex_numIdEEEviiiPKT0_S5_S5_PS3_,@function
_ZN9rocsparseL44gtsv_nopivot_strided_batch_pcr_shared_kernelILj128E21rocsparse_complex_numIdEEEviiiPKT0_S5_S5_PS3_: ; @_ZN9rocsparseL44gtsv_nopivot_strided_batch_pcr_shared_kernelILj128E21rocsparse_complex_numIdEEEviiiPKT0_S5_S5_PS3_
; %bb.0:
	s_load_dword s3, s[0:1], 0x8
	s_load_dword s8, s[0:1], 0x0
	v_mov_b64_e32 v[2:3], 0
	v_mov_b64_e32 v[8:9], 0
	v_mov_b64_e32 v[10:11], 0
	s_waitcnt lgkmcnt(0)
	s_mul_i32 s4, s3, s2
	v_add_u32_e32 v6, s4, v0
	v_cmp_gt_i32_e64 s[2:3], s8, v0
	v_ashrrev_i32_e32 v7, 31, v6
	s_and_saveexec_b64 s[4:5], s[2:3]
	s_cbranch_execz .LBB77_2
; %bb.1:
	s_load_dwordx2 s[6:7], s[0:1], 0x10
	s_waitcnt lgkmcnt(0)
	v_lshl_add_u64 v[4:5], v[6:7], 4, s[6:7]
	global_load_dwordx4 v[8:11], v[4:5], off
.LBB77_2:
	s_or_b64 exec, exec, s[4:5]
	v_lshlrev_b32_e32 v1, 4, v0
	v_mov_b64_e32 v[4:5], 0
	s_waitcnt vmcnt(0)
	ds_write_b128 v1, v[8:11]
	s_and_saveexec_b64 s[4:5], s[2:3]
	s_cbranch_execz .LBB77_4
; %bb.3:
	s_load_dwordx2 s[6:7], s[0:1], 0x18
	s_waitcnt lgkmcnt(0)
	v_lshl_add_u64 v[2:3], v[6:7], 4, s[6:7]
	global_load_dwordx4 v[2:5], v[2:3], off
.LBB77_4:
	s_or_b64 exec, exec, s[4:5]
	s_load_dwordx2 s[4:5], s[0:1], 0x28
	s_waitcnt vmcnt(0)
	ds_write_b128 v1, v[2:5] offset:2048
	v_mov_b64_e32 v[2:3], 0
	v_mov_b64_e32 v[10:11], 0
	;; [unrolled: 1-line block ×3, first 2 shown]
	s_and_saveexec_b64 s[6:7], s[2:3]
	s_cbranch_execz .LBB77_6
; %bb.5:
	s_load_dwordx2 s[0:1], s[0:1], 0x20
	s_waitcnt lgkmcnt(0)
	v_lshl_add_u64 v[4:5], v[6:7], 4, s[0:1]
	global_load_dwordx4 v[10:13], v[4:5], off
.LBB77_6:
	s_or_b64 exec, exec, s[6:7]
	v_or_b32_e32 v9, 0x800, v1
	v_or_b32_e32 v8, 0x1000, v1
	v_mov_b64_e32 v[4:5], 0
	s_waitcnt vmcnt(0)
	ds_write_b128 v1, v[10:13] offset:4096
	s_and_saveexec_b64 s[0:1], s[2:3]
	s_cbranch_execz .LBB77_8
; %bb.7:
	s_waitcnt lgkmcnt(0)
	v_lshl_add_u64 v[2:3], v[6:7], 4, s[4:5]
	global_load_dwordx4 v[2:5], v[2:3], off
.LBB77_8:
	s_or_b64 exec, exec, s[0:1]
	s_waitcnt vmcnt(0)
	ds_write_b128 v1, v[2:5] offset:8192
	v_sub_u32_e64 v2, v0, 1 clamp
	v_lshlrev_b32_e32 v42, 4, v2
	s_waitcnt lgkmcnt(0)
	s_barrier
	ds_read_b128 v[2:5], v42 offset:2048
	ds_read_b128 v[10:13], v42
	s_add_i32 s0, s8, -1
	v_add_u32_e32 v14, 1, v0
	v_min_i32_e32 v28, s0, v14
	s_waitcnt lgkmcnt(1)
	v_mul_f64 v[18:19], v[4:5], v[4:5]
	v_fmac_f64_e32 v[18:19], v[2:3], v[2:3]
	v_div_scale_f64 v[20:21], s[6:7], v[18:19], v[18:19], 1.0
	v_rcp_f64_e32 v[22:23], v[20:21]
	ds_read_b128 v[14:17], v1
	v_lshlrev_b32_e32 v43, 4, v28
	v_fma_f64 v[24:25], -v[20:21], v[22:23], 1.0
	v_fmac_f64_e32 v[22:23], v[22:23], v[24:25]
	v_fma_f64 v[24:25], -v[20:21], v[22:23], 1.0
	v_fmac_f64_e32 v[22:23], v[22:23], v[24:25]
	v_div_scale_f64 v[24:25], vcc, 1.0, v[18:19], 1.0
	v_mul_f64 v[26:27], v[24:25], v[22:23]
	v_fma_f64 v[20:21], -v[20:21], v[26:27], v[24:25]
	s_nop 1
	v_div_fmas_f64 v[20:21], v[20:21], v[22:23], v[26:27]
	ds_read_b128 v[22:25], v43 offset:2048
	v_div_fixup_f64 v[30:31], v[20:21], v[18:19], 1.0
	ds_read_b128 v[18:21], v9
	s_waitcnt lgkmcnt(2)
	v_mul_f64 v[26:27], v[4:5], v[16:17]
	v_fmac_f64_e32 v[26:27], v[14:15], v[2:3]
	v_mul_f64 v[34:35], v[30:31], v[26:27]
	v_mul_f64 v[4:5], v[4:5], -v[14:15]
	ds_read_b128 v[26:29], v43
	s_waitcnt lgkmcnt(2)
	v_mul_f64 v[14:15], v[24:25], v[24:25]
	v_fmac_f64_e32 v[14:15], v[22:23], v[22:23]
	v_div_scale_f64 v[32:33], s[6:7], v[14:15], v[14:15], 1.0
	v_rcp_f64_e32 v[36:37], v[32:33]
	v_fmac_f64_e32 v[4:5], v[16:17], v[2:3]
	v_mul_f64 v[38:39], v[30:31], v[4:5]
	ds_read_b128 v[2:5], v8
	v_fma_f64 v[16:17], -v[32:33], v[36:37], 1.0
	v_fmac_f64_e32 v[36:37], v[36:37], v[16:17]
	v_fma_f64 v[16:17], -v[32:33], v[36:37], 1.0
	v_fmac_f64_e32 v[36:37], v[36:37], v[16:17]
	v_div_scale_f64 v[16:17], vcc, 1.0, v[14:15], 1.0
	v_mul_f64 v[30:31], v[16:17], v[36:37]
	v_fma_f64 v[16:17], -v[32:33], v[30:31], v[16:17]
	s_nop 1
	v_div_fmas_f64 v[16:17], v[16:17], v[36:37], v[30:31]
	v_div_fixup_f64 v[36:37], v[16:17], v[14:15], 1.0
	ds_read_b128 v[14:17], v1 offset:8192
	s_waitcnt lgkmcnt(1)
	v_mul_f64 v[30:31], v[24:25], v[4:5]
	v_fmac_f64_e32 v[30:31], v[2:3], v[22:23]
	v_mul_f64 v[40:41], v[36:37], v[30:31]
	ds_read_b128 v[30:33], v42 offset:4096
	v_mul_f64 v[2:3], v[24:25], -v[2:3]
	v_fmac_f64_e32 v[2:3], v[4:5], v[22:23]
	v_mul_f64 v[36:37], v[36:37], v[2:3]
	ds_read_b128 v[2:5], v42 offset:8192
	s_waitcnt lgkmcnt(1)
	v_mul_f64 v[22:23], v[38:39], -v[32:33]
	v_mul_f64 v[24:25], v[38:39], v[30:31]
	v_fmac_f64_e32 v[22:23], v[30:31], v[34:35]
	v_fmac_f64_e32 v[24:25], v[32:33], v[34:35]
	v_add_f64 v[18:19], v[18:19], -v[22:23]
	v_add_f64 v[20:21], v[20:21], -v[24:25]
	v_mul_f64 v[22:23], v[36:37], -v[28:29]
	v_mul_f64 v[24:25], v[36:37], v[26:27]
	v_fmac_f64_e32 v[22:23], v[26:27], v[40:41]
	v_fmac_f64_e32 v[24:25], v[28:29], v[40:41]
	v_add_f64 v[18:19], v[18:19], -v[22:23]
	v_add_f64 v[20:21], v[20:21], -v[24:25]
	ds_read_b128 v[22:25], v43 offset:8192
	s_waitcnt lgkmcnt(1)
	v_mul_f64 v[26:27], v[38:39], -v[4:5]
	v_fmac_f64_e32 v[26:27], v[2:3], v[34:35]
	v_mul_f64 v[2:3], v[38:39], v[2:3]
	v_fmac_f64_e32 v[2:3], v[4:5], v[34:35]
	v_add_f64 v[14:15], v[14:15], -v[26:27]
	v_add_f64 v[16:17], v[16:17], -v[2:3]
	ds_read_b128 v[2:5], v43 offset:4096
	s_waitcnt lgkmcnt(1)
	v_mul_f64 v[26:27], v[36:37], -v[24:25]
	v_fmac_f64_e32 v[26:27], v[22:23], v[40:41]
	v_mul_f64 v[22:23], v[36:37], v[22:23]
	v_fmac_f64_e32 v[22:23], v[24:25], v[40:41]
	v_add_f64 v[16:17], v[16:17], -v[22:23]
	v_mul_f64 v[22:23], v[38:39], v[12:13]
	v_fma_f64 v[22:23], -v[10:11], v[34:35], v[22:23]
	v_mul_f64 v[10:11], v[38:39], -v[10:11]
	v_fma_f64 v[24:25], -v[12:13], v[34:35], v[10:11]
	s_waitcnt lgkmcnt(0)
	v_mul_f64 v[10:11], v[36:37], v[4:5]
	v_fma_f64 v[10:11], -v[2:3], v[40:41], v[10:11]
	v_mul_f64 v[2:3], v[36:37], -v[2:3]
	v_fma_f64 v[12:13], -v[4:5], v[40:41], v[2:3]
	v_sub_u32_e64 v2, v0, 2 clamp
	v_lshlrev_b32_e32 v42, 4, v2
	v_add_f64 v[14:15], v[14:15], -v[26:27]
	s_barrier
	ds_write_b128 v9, v[18:21]
	ds_write_b128 v1, v[14:17] offset:8192
	ds_write_b128 v1, v[22:25]
	ds_write_b128 v8, v[10:13]
	s_waitcnt lgkmcnt(0)
	s_barrier
	ds_read_b128 v[2:5], v42 offset:2048
	ds_read_b128 v[10:13], v42
	v_add_u32_e32 v14, 2, v0
	v_min_i32_e32 v28, s0, v14
	ds_read_b128 v[14:17], v1
	s_waitcnt lgkmcnt(2)
	v_mul_f64 v[18:19], v[4:5], v[4:5]
	v_fmac_f64_e32 v[18:19], v[2:3], v[2:3]
	v_div_scale_f64 v[20:21], s[6:7], v[18:19], v[18:19], 1.0
	v_rcp_f64_e32 v[22:23], v[20:21]
	v_lshlrev_b32_e32 v43, 4, v28
	v_fma_f64 v[24:25], -v[20:21], v[22:23], 1.0
	v_fmac_f64_e32 v[22:23], v[22:23], v[24:25]
	v_fma_f64 v[24:25], -v[20:21], v[22:23], 1.0
	v_fmac_f64_e32 v[22:23], v[22:23], v[24:25]
	v_div_scale_f64 v[24:25], vcc, 1.0, v[18:19], 1.0
	v_mul_f64 v[26:27], v[24:25], v[22:23]
	v_fma_f64 v[20:21], -v[20:21], v[26:27], v[24:25]
	s_nop 1
	v_div_fmas_f64 v[20:21], v[20:21], v[22:23], v[26:27]
	ds_read_b128 v[22:25], v43 offset:2048
	v_div_fixup_f64 v[30:31], v[20:21], v[18:19], 1.0
	ds_read_b128 v[18:21], v9
	s_waitcnt lgkmcnt(2)
	v_mul_f64 v[26:27], v[4:5], v[16:17]
	v_fmac_f64_e32 v[26:27], v[14:15], v[2:3]
	v_mul_f64 v[34:35], v[30:31], v[26:27]
	v_mul_f64 v[4:5], v[4:5], -v[14:15]
	ds_read_b128 v[26:29], v43
	s_waitcnt lgkmcnt(2)
	v_mul_f64 v[14:15], v[24:25], v[24:25]
	v_fmac_f64_e32 v[14:15], v[22:23], v[22:23]
	v_div_scale_f64 v[32:33], s[6:7], v[14:15], v[14:15], 1.0
	v_rcp_f64_e32 v[36:37], v[32:33]
	v_fmac_f64_e32 v[4:5], v[16:17], v[2:3]
	v_mul_f64 v[38:39], v[30:31], v[4:5]
	ds_read_b128 v[2:5], v8
	v_fma_f64 v[16:17], -v[32:33], v[36:37], 1.0
	v_fmac_f64_e32 v[36:37], v[36:37], v[16:17]
	v_fma_f64 v[16:17], -v[32:33], v[36:37], 1.0
	v_fmac_f64_e32 v[36:37], v[36:37], v[16:17]
	v_div_scale_f64 v[16:17], vcc, 1.0, v[14:15], 1.0
	v_mul_f64 v[30:31], v[16:17], v[36:37]
	v_fma_f64 v[16:17], -v[32:33], v[30:31], v[16:17]
	s_nop 1
	v_div_fmas_f64 v[16:17], v[16:17], v[36:37], v[30:31]
	v_div_fixup_f64 v[36:37], v[16:17], v[14:15], 1.0
	ds_read_b128 v[14:17], v1 offset:8192
	s_waitcnt lgkmcnt(1)
	v_mul_f64 v[30:31], v[24:25], v[4:5]
	v_fmac_f64_e32 v[30:31], v[2:3], v[22:23]
	v_mul_f64 v[40:41], v[36:37], v[30:31]
	ds_read_b128 v[30:33], v42 offset:4096
	v_mul_f64 v[2:3], v[24:25], -v[2:3]
	v_fmac_f64_e32 v[2:3], v[4:5], v[22:23]
	v_mul_f64 v[36:37], v[36:37], v[2:3]
	ds_read_b128 v[2:5], v42 offset:8192
	s_waitcnt lgkmcnt(1)
	v_mul_f64 v[22:23], v[38:39], -v[32:33]
	v_mul_f64 v[24:25], v[38:39], v[30:31]
	v_fmac_f64_e32 v[22:23], v[30:31], v[34:35]
	v_fmac_f64_e32 v[24:25], v[32:33], v[34:35]
	v_add_f64 v[18:19], v[18:19], -v[22:23]
	v_add_f64 v[20:21], v[20:21], -v[24:25]
	v_mul_f64 v[22:23], v[36:37], -v[28:29]
	v_mul_f64 v[24:25], v[36:37], v[26:27]
	v_fmac_f64_e32 v[22:23], v[26:27], v[40:41]
	v_fmac_f64_e32 v[24:25], v[28:29], v[40:41]
	v_add_f64 v[18:19], v[18:19], -v[22:23]
	v_add_f64 v[20:21], v[20:21], -v[24:25]
	ds_read_b128 v[22:25], v43 offset:8192
	s_waitcnt lgkmcnt(1)
	v_mul_f64 v[26:27], v[38:39], -v[4:5]
	v_fmac_f64_e32 v[26:27], v[2:3], v[34:35]
	v_mul_f64 v[2:3], v[38:39], v[2:3]
	v_fmac_f64_e32 v[2:3], v[4:5], v[34:35]
	v_add_f64 v[14:15], v[14:15], -v[26:27]
	v_add_f64 v[16:17], v[16:17], -v[2:3]
	ds_read_b128 v[2:5], v43 offset:4096
	s_waitcnt lgkmcnt(1)
	v_mul_f64 v[26:27], v[36:37], -v[24:25]
	v_fmac_f64_e32 v[26:27], v[22:23], v[40:41]
	v_mul_f64 v[22:23], v[36:37], v[22:23]
	v_fmac_f64_e32 v[22:23], v[24:25], v[40:41]
	v_add_f64 v[16:17], v[16:17], -v[22:23]
	v_mul_f64 v[22:23], v[38:39], v[12:13]
	v_fma_f64 v[22:23], -v[10:11], v[34:35], v[22:23]
	v_mul_f64 v[10:11], v[38:39], -v[10:11]
	v_fma_f64 v[24:25], -v[12:13], v[34:35], v[10:11]
	s_waitcnt lgkmcnt(0)
	v_mul_f64 v[10:11], v[36:37], v[4:5]
	v_fma_f64 v[10:11], -v[2:3], v[40:41], v[10:11]
	v_mul_f64 v[2:3], v[36:37], -v[2:3]
	v_fma_f64 v[12:13], -v[4:5], v[40:41], v[2:3]
	v_sub_u32_e64 v2, v0, 4 clamp
	v_lshlrev_b32_e32 v42, 4, v2
	v_add_f64 v[14:15], v[14:15], -v[26:27]
	s_barrier
	ds_write_b128 v9, v[18:21]
	ds_write_b128 v1, v[14:17] offset:8192
	ds_write_b128 v1, v[22:25]
	ds_write_b128 v8, v[10:13]
	s_waitcnt lgkmcnt(0)
	s_barrier
	ds_read_b128 v[2:5], v42 offset:2048
	ds_read_b128 v[10:13], v42
	v_add_u32_e32 v14, 4, v0
	v_min_i32_e32 v28, s0, v14
	ds_read_b128 v[14:17], v1
	s_waitcnt lgkmcnt(2)
	v_mul_f64 v[18:19], v[4:5], v[4:5]
	v_fmac_f64_e32 v[18:19], v[2:3], v[2:3]
	v_div_scale_f64 v[20:21], s[6:7], v[18:19], v[18:19], 1.0
	v_rcp_f64_e32 v[22:23], v[20:21]
	v_lshlrev_b32_e32 v43, 4, v28
	v_fma_f64 v[24:25], -v[20:21], v[22:23], 1.0
	v_fmac_f64_e32 v[22:23], v[22:23], v[24:25]
	v_fma_f64 v[24:25], -v[20:21], v[22:23], 1.0
	v_fmac_f64_e32 v[22:23], v[22:23], v[24:25]
	v_div_scale_f64 v[24:25], vcc, 1.0, v[18:19], 1.0
	v_mul_f64 v[26:27], v[24:25], v[22:23]
	v_fma_f64 v[20:21], -v[20:21], v[26:27], v[24:25]
	s_nop 1
	v_div_fmas_f64 v[20:21], v[20:21], v[22:23], v[26:27]
	ds_read_b128 v[22:25], v43 offset:2048
	v_div_fixup_f64 v[30:31], v[20:21], v[18:19], 1.0
	ds_read_b128 v[18:21], v9
	s_waitcnt lgkmcnt(2)
	v_mul_f64 v[26:27], v[4:5], v[16:17]
	v_fmac_f64_e32 v[26:27], v[14:15], v[2:3]
	v_mul_f64 v[34:35], v[30:31], v[26:27]
	v_mul_f64 v[4:5], v[4:5], -v[14:15]
	ds_read_b128 v[26:29], v43
	s_waitcnt lgkmcnt(2)
	v_mul_f64 v[14:15], v[24:25], v[24:25]
	v_fmac_f64_e32 v[14:15], v[22:23], v[22:23]
	v_div_scale_f64 v[32:33], s[6:7], v[14:15], v[14:15], 1.0
	v_rcp_f64_e32 v[36:37], v[32:33]
	v_fmac_f64_e32 v[4:5], v[16:17], v[2:3]
	v_mul_f64 v[38:39], v[30:31], v[4:5]
	ds_read_b128 v[2:5], v8
	v_fma_f64 v[16:17], -v[32:33], v[36:37], 1.0
	v_fmac_f64_e32 v[36:37], v[36:37], v[16:17]
	v_fma_f64 v[16:17], -v[32:33], v[36:37], 1.0
	v_fmac_f64_e32 v[36:37], v[36:37], v[16:17]
	v_div_scale_f64 v[16:17], vcc, 1.0, v[14:15], 1.0
	v_mul_f64 v[30:31], v[16:17], v[36:37]
	v_fma_f64 v[16:17], -v[32:33], v[30:31], v[16:17]
	s_nop 1
	v_div_fmas_f64 v[16:17], v[16:17], v[36:37], v[30:31]
	v_div_fixup_f64 v[36:37], v[16:17], v[14:15], 1.0
	ds_read_b128 v[14:17], v1 offset:8192
	s_waitcnt lgkmcnt(1)
	v_mul_f64 v[30:31], v[24:25], v[4:5]
	v_fmac_f64_e32 v[30:31], v[2:3], v[22:23]
	v_mul_f64 v[40:41], v[36:37], v[30:31]
	ds_read_b128 v[30:33], v42 offset:4096
	v_mul_f64 v[2:3], v[24:25], -v[2:3]
	v_fmac_f64_e32 v[2:3], v[4:5], v[22:23]
	v_mul_f64 v[36:37], v[36:37], v[2:3]
	ds_read_b128 v[2:5], v42 offset:8192
	s_waitcnt lgkmcnt(1)
	v_mul_f64 v[22:23], v[38:39], -v[32:33]
	v_mul_f64 v[24:25], v[38:39], v[30:31]
	v_fmac_f64_e32 v[22:23], v[30:31], v[34:35]
	v_fmac_f64_e32 v[24:25], v[32:33], v[34:35]
	v_add_f64 v[18:19], v[18:19], -v[22:23]
	v_add_f64 v[20:21], v[20:21], -v[24:25]
	v_mul_f64 v[22:23], v[36:37], -v[28:29]
	v_mul_f64 v[24:25], v[36:37], v[26:27]
	v_fmac_f64_e32 v[22:23], v[26:27], v[40:41]
	v_fmac_f64_e32 v[24:25], v[28:29], v[40:41]
	v_add_f64 v[18:19], v[18:19], -v[22:23]
	v_add_f64 v[20:21], v[20:21], -v[24:25]
	ds_read_b128 v[22:25], v43 offset:8192
	s_waitcnt lgkmcnt(1)
	v_mul_f64 v[26:27], v[38:39], -v[4:5]
	v_fmac_f64_e32 v[26:27], v[2:3], v[34:35]
	v_mul_f64 v[2:3], v[38:39], v[2:3]
	v_fmac_f64_e32 v[2:3], v[4:5], v[34:35]
	v_add_f64 v[14:15], v[14:15], -v[26:27]
	v_add_f64 v[16:17], v[16:17], -v[2:3]
	ds_read_b128 v[2:5], v43 offset:4096
	s_waitcnt lgkmcnt(1)
	v_mul_f64 v[26:27], v[36:37], -v[24:25]
	v_fmac_f64_e32 v[26:27], v[22:23], v[40:41]
	v_mul_f64 v[22:23], v[36:37], v[22:23]
	v_fmac_f64_e32 v[22:23], v[24:25], v[40:41]
	v_add_f64 v[16:17], v[16:17], -v[22:23]
	v_mul_f64 v[22:23], v[38:39], v[12:13]
	v_fma_f64 v[22:23], -v[10:11], v[34:35], v[22:23]
	v_mul_f64 v[10:11], v[38:39], -v[10:11]
	v_fma_f64 v[24:25], -v[12:13], v[34:35], v[10:11]
	s_waitcnt lgkmcnt(0)
	v_mul_f64 v[10:11], v[36:37], v[4:5]
	v_fma_f64 v[10:11], -v[2:3], v[40:41], v[10:11]
	v_mul_f64 v[2:3], v[36:37], -v[2:3]
	v_fma_f64 v[12:13], -v[4:5], v[40:41], v[2:3]
	v_sub_u32_e64 v2, v0, 8 clamp
	v_lshlrev_b32_e32 v42, 4, v2
	v_add_f64 v[14:15], v[14:15], -v[26:27]
	s_barrier
	ds_write_b128 v9, v[18:21]
	ds_write_b128 v1, v[14:17] offset:8192
	ds_write_b128 v1, v[22:25]
	ds_write_b128 v8, v[10:13]
	s_waitcnt lgkmcnt(0)
	s_barrier
	ds_read_b128 v[2:5], v42 offset:2048
	ds_read_b128 v[10:13], v42
	v_add_u32_e32 v14, 8, v0
	v_min_i32_e32 v28, s0, v14
	ds_read_b128 v[14:17], v1
	s_waitcnt lgkmcnt(2)
	v_mul_f64 v[18:19], v[4:5], v[4:5]
	v_fmac_f64_e32 v[18:19], v[2:3], v[2:3]
	v_div_scale_f64 v[20:21], s[6:7], v[18:19], v[18:19], 1.0
	v_rcp_f64_e32 v[22:23], v[20:21]
	v_lshlrev_b32_e32 v43, 4, v28
	v_fma_f64 v[24:25], -v[20:21], v[22:23], 1.0
	v_fmac_f64_e32 v[22:23], v[22:23], v[24:25]
	v_fma_f64 v[24:25], -v[20:21], v[22:23], 1.0
	v_fmac_f64_e32 v[22:23], v[22:23], v[24:25]
	v_div_scale_f64 v[24:25], vcc, 1.0, v[18:19], 1.0
	v_mul_f64 v[26:27], v[24:25], v[22:23]
	v_fma_f64 v[20:21], -v[20:21], v[26:27], v[24:25]
	s_nop 1
	v_div_fmas_f64 v[20:21], v[20:21], v[22:23], v[26:27]
	ds_read_b128 v[22:25], v43 offset:2048
	v_div_fixup_f64 v[30:31], v[20:21], v[18:19], 1.0
	ds_read_b128 v[18:21], v9
	s_waitcnt lgkmcnt(2)
	v_mul_f64 v[26:27], v[4:5], v[16:17]
	v_fmac_f64_e32 v[26:27], v[14:15], v[2:3]
	v_mul_f64 v[34:35], v[30:31], v[26:27]
	v_mul_f64 v[4:5], v[4:5], -v[14:15]
	ds_read_b128 v[26:29], v43
	s_waitcnt lgkmcnt(2)
	v_mul_f64 v[14:15], v[24:25], v[24:25]
	v_fmac_f64_e32 v[14:15], v[22:23], v[22:23]
	v_div_scale_f64 v[32:33], s[6:7], v[14:15], v[14:15], 1.0
	v_rcp_f64_e32 v[36:37], v[32:33]
	v_fmac_f64_e32 v[4:5], v[16:17], v[2:3]
	v_mul_f64 v[38:39], v[30:31], v[4:5]
	ds_read_b128 v[2:5], v8
	v_fma_f64 v[16:17], -v[32:33], v[36:37], 1.0
	v_fmac_f64_e32 v[36:37], v[36:37], v[16:17]
	v_fma_f64 v[16:17], -v[32:33], v[36:37], 1.0
	v_fmac_f64_e32 v[36:37], v[36:37], v[16:17]
	v_div_scale_f64 v[16:17], vcc, 1.0, v[14:15], 1.0
	v_mul_f64 v[30:31], v[16:17], v[36:37]
	v_fma_f64 v[16:17], -v[32:33], v[30:31], v[16:17]
	s_nop 1
	v_div_fmas_f64 v[16:17], v[16:17], v[36:37], v[30:31]
	v_div_fixup_f64 v[36:37], v[16:17], v[14:15], 1.0
	ds_read_b128 v[14:17], v1 offset:8192
	s_waitcnt lgkmcnt(1)
	v_mul_f64 v[30:31], v[24:25], v[4:5]
	v_fmac_f64_e32 v[30:31], v[2:3], v[22:23]
	v_mul_f64 v[40:41], v[36:37], v[30:31]
	ds_read_b128 v[30:33], v42 offset:4096
	v_mul_f64 v[2:3], v[24:25], -v[2:3]
	v_fmac_f64_e32 v[2:3], v[4:5], v[22:23]
	v_mul_f64 v[36:37], v[36:37], v[2:3]
	ds_read_b128 v[2:5], v42 offset:8192
	s_waitcnt lgkmcnt(1)
	v_mul_f64 v[22:23], v[38:39], -v[32:33]
	v_mul_f64 v[24:25], v[38:39], v[30:31]
	v_fmac_f64_e32 v[22:23], v[30:31], v[34:35]
	v_fmac_f64_e32 v[24:25], v[32:33], v[34:35]
	v_add_f64 v[18:19], v[18:19], -v[22:23]
	v_add_f64 v[20:21], v[20:21], -v[24:25]
	v_mul_f64 v[22:23], v[36:37], -v[28:29]
	v_mul_f64 v[24:25], v[36:37], v[26:27]
	v_fmac_f64_e32 v[22:23], v[26:27], v[40:41]
	v_fmac_f64_e32 v[24:25], v[28:29], v[40:41]
	v_add_f64 v[18:19], v[18:19], -v[22:23]
	v_add_f64 v[20:21], v[20:21], -v[24:25]
	ds_read_b128 v[22:25], v43 offset:8192
	s_waitcnt lgkmcnt(1)
	v_mul_f64 v[26:27], v[38:39], -v[4:5]
	v_fmac_f64_e32 v[26:27], v[2:3], v[34:35]
	v_mul_f64 v[2:3], v[38:39], v[2:3]
	v_fmac_f64_e32 v[2:3], v[4:5], v[34:35]
	v_add_f64 v[14:15], v[14:15], -v[26:27]
	v_add_f64 v[16:17], v[16:17], -v[2:3]
	ds_read_b128 v[2:5], v43 offset:4096
	s_waitcnt lgkmcnt(1)
	v_mul_f64 v[26:27], v[36:37], -v[24:25]
	v_fmac_f64_e32 v[26:27], v[22:23], v[40:41]
	v_mul_f64 v[22:23], v[36:37], v[22:23]
	v_fmac_f64_e32 v[22:23], v[24:25], v[40:41]
	v_add_f64 v[16:17], v[16:17], -v[22:23]
	v_mul_f64 v[22:23], v[38:39], v[12:13]
	v_fma_f64 v[22:23], -v[10:11], v[34:35], v[22:23]
	v_mul_f64 v[10:11], v[38:39], -v[10:11]
	v_fma_f64 v[24:25], -v[12:13], v[34:35], v[10:11]
	s_waitcnt lgkmcnt(0)
	v_mul_f64 v[10:11], v[36:37], v[4:5]
	v_fma_f64 v[10:11], -v[2:3], v[40:41], v[10:11]
	v_mul_f64 v[2:3], v[36:37], -v[2:3]
	v_fma_f64 v[12:13], -v[4:5], v[40:41], v[2:3]
	v_sub_u32_e64 v2, v0, 16 clamp
	v_lshlrev_b32_e32 v42, 4, v2
	v_add_f64 v[14:15], v[14:15], -v[26:27]
	s_barrier
	ds_write_b128 v9, v[18:21]
	ds_write_b128 v1, v[14:17] offset:8192
	ds_write_b128 v1, v[22:25]
	ds_write_b128 v8, v[10:13]
	s_waitcnt lgkmcnt(0)
	s_barrier
	ds_read_b128 v[2:5], v42 offset:2048
	ds_read_b128 v[10:13], v42
	v_add_u32_e32 v14, 16, v0
	v_min_i32_e32 v28, s0, v14
	ds_read_b128 v[14:17], v1
	s_waitcnt lgkmcnt(2)
	v_mul_f64 v[18:19], v[4:5], v[4:5]
	v_fmac_f64_e32 v[18:19], v[2:3], v[2:3]
	v_div_scale_f64 v[20:21], s[6:7], v[18:19], v[18:19], 1.0
	v_rcp_f64_e32 v[22:23], v[20:21]
	v_lshlrev_b32_e32 v43, 4, v28
	v_fma_f64 v[24:25], -v[20:21], v[22:23], 1.0
	v_fmac_f64_e32 v[22:23], v[22:23], v[24:25]
	v_fma_f64 v[24:25], -v[20:21], v[22:23], 1.0
	v_fmac_f64_e32 v[22:23], v[22:23], v[24:25]
	v_div_scale_f64 v[24:25], vcc, 1.0, v[18:19], 1.0
	v_mul_f64 v[26:27], v[24:25], v[22:23]
	v_fma_f64 v[20:21], -v[20:21], v[26:27], v[24:25]
	s_nop 1
	v_div_fmas_f64 v[20:21], v[20:21], v[22:23], v[26:27]
	ds_read_b128 v[22:25], v43 offset:2048
	v_div_fixup_f64 v[30:31], v[20:21], v[18:19], 1.0
	ds_read_b128 v[18:21], v9
	s_waitcnt lgkmcnt(2)
	v_mul_f64 v[26:27], v[4:5], v[16:17]
	v_fmac_f64_e32 v[26:27], v[14:15], v[2:3]
	v_mul_f64 v[34:35], v[30:31], v[26:27]
	v_mul_f64 v[4:5], v[4:5], -v[14:15]
	ds_read_b128 v[26:29], v43
	s_waitcnt lgkmcnt(2)
	v_mul_f64 v[14:15], v[24:25], v[24:25]
	v_fmac_f64_e32 v[14:15], v[22:23], v[22:23]
	v_div_scale_f64 v[32:33], s[6:7], v[14:15], v[14:15], 1.0
	v_rcp_f64_e32 v[36:37], v[32:33]
	v_fmac_f64_e32 v[4:5], v[16:17], v[2:3]
	v_mul_f64 v[38:39], v[30:31], v[4:5]
	ds_read_b128 v[2:5], v8
	v_fma_f64 v[16:17], -v[32:33], v[36:37], 1.0
	v_fmac_f64_e32 v[36:37], v[36:37], v[16:17]
	v_fma_f64 v[16:17], -v[32:33], v[36:37], 1.0
	v_fmac_f64_e32 v[36:37], v[36:37], v[16:17]
	v_div_scale_f64 v[16:17], vcc, 1.0, v[14:15], 1.0
	v_mul_f64 v[30:31], v[16:17], v[36:37]
	v_fma_f64 v[16:17], -v[32:33], v[30:31], v[16:17]
	s_nop 1
	v_div_fmas_f64 v[16:17], v[16:17], v[36:37], v[30:31]
	v_div_fixup_f64 v[36:37], v[16:17], v[14:15], 1.0
	ds_read_b128 v[14:17], v1 offset:8192
	s_waitcnt lgkmcnt(1)
	v_mul_f64 v[30:31], v[24:25], v[4:5]
	v_fmac_f64_e32 v[30:31], v[2:3], v[22:23]
	v_mul_f64 v[40:41], v[36:37], v[30:31]
	ds_read_b128 v[30:33], v42 offset:4096
	v_mul_f64 v[2:3], v[24:25], -v[2:3]
	v_fmac_f64_e32 v[2:3], v[4:5], v[22:23]
	v_mul_f64 v[36:37], v[36:37], v[2:3]
	ds_read_b128 v[2:5], v42 offset:8192
	s_waitcnt lgkmcnt(1)
	v_mul_f64 v[22:23], v[38:39], -v[32:33]
	v_mul_f64 v[24:25], v[38:39], v[30:31]
	v_fmac_f64_e32 v[22:23], v[30:31], v[34:35]
	v_fmac_f64_e32 v[24:25], v[32:33], v[34:35]
	v_add_f64 v[18:19], v[18:19], -v[22:23]
	v_add_f64 v[20:21], v[20:21], -v[24:25]
	v_mul_f64 v[22:23], v[36:37], -v[28:29]
	v_mul_f64 v[24:25], v[36:37], v[26:27]
	v_fmac_f64_e32 v[22:23], v[26:27], v[40:41]
	v_fmac_f64_e32 v[24:25], v[28:29], v[40:41]
	v_add_f64 v[18:19], v[18:19], -v[22:23]
	v_add_f64 v[20:21], v[20:21], -v[24:25]
	ds_read_b128 v[22:25], v43 offset:8192
	s_waitcnt lgkmcnt(1)
	v_mul_f64 v[26:27], v[38:39], -v[4:5]
	v_fmac_f64_e32 v[26:27], v[2:3], v[34:35]
	v_mul_f64 v[2:3], v[38:39], v[2:3]
	v_fmac_f64_e32 v[2:3], v[4:5], v[34:35]
	v_add_f64 v[14:15], v[14:15], -v[26:27]
	v_add_f64 v[16:17], v[16:17], -v[2:3]
	ds_read_b128 v[2:5], v43 offset:4096
	s_waitcnt lgkmcnt(1)
	v_mul_f64 v[26:27], v[36:37], -v[24:25]
	v_fmac_f64_e32 v[26:27], v[22:23], v[40:41]
	v_mul_f64 v[22:23], v[36:37], v[22:23]
	v_fmac_f64_e32 v[22:23], v[24:25], v[40:41]
	v_add_f64 v[16:17], v[16:17], -v[22:23]
	v_mul_f64 v[22:23], v[38:39], v[12:13]
	v_fma_f64 v[22:23], -v[10:11], v[34:35], v[22:23]
	v_mul_f64 v[10:11], v[38:39], -v[10:11]
	v_fma_f64 v[24:25], -v[12:13], v[34:35], v[10:11]
	s_waitcnt lgkmcnt(0)
	v_mul_f64 v[10:11], v[36:37], v[4:5]
	v_fma_f64 v[10:11], -v[2:3], v[40:41], v[10:11]
	v_mul_f64 v[2:3], v[36:37], -v[2:3]
	v_fma_f64 v[12:13], -v[4:5], v[40:41], v[2:3]
	v_sub_u32_e64 v2, v0, 32 clamp
	v_lshlrev_b32_e32 v42, 4, v2
	v_add_f64 v[14:15], v[14:15], -v[26:27]
	s_barrier
	ds_write_b128 v9, v[18:21]
	ds_write_b128 v1, v[14:17] offset:8192
	ds_write_b128 v1, v[22:25]
	ds_write_b128 v8, v[10:13]
	s_waitcnt lgkmcnt(0)
	s_barrier
	ds_read_b128 v[2:5], v42 offset:2048
	ds_read_b128 v[10:13], v42
	v_add_u32_e32 v14, 32, v0
	v_min_i32_e32 v28, s0, v14
	ds_read_b128 v[14:17], v1
	s_waitcnt lgkmcnt(2)
	v_mul_f64 v[18:19], v[4:5], v[4:5]
	v_fmac_f64_e32 v[18:19], v[2:3], v[2:3]
	v_div_scale_f64 v[20:21], s[6:7], v[18:19], v[18:19], 1.0
	v_rcp_f64_e32 v[22:23], v[20:21]
	v_lshlrev_b32_e32 v43, 4, v28
	v_fma_f64 v[24:25], -v[20:21], v[22:23], 1.0
	v_fmac_f64_e32 v[22:23], v[22:23], v[24:25]
	v_fma_f64 v[24:25], -v[20:21], v[22:23], 1.0
	v_fmac_f64_e32 v[22:23], v[22:23], v[24:25]
	v_div_scale_f64 v[24:25], vcc, 1.0, v[18:19], 1.0
	v_mul_f64 v[26:27], v[24:25], v[22:23]
	v_fma_f64 v[20:21], -v[20:21], v[26:27], v[24:25]
	s_nop 1
	v_div_fmas_f64 v[20:21], v[20:21], v[22:23], v[26:27]
	ds_read_b128 v[22:25], v43 offset:2048
	v_div_fixup_f64 v[30:31], v[20:21], v[18:19], 1.0
	ds_read_b128 v[18:21], v9
	s_waitcnt lgkmcnt(2)
	v_mul_f64 v[26:27], v[4:5], v[16:17]
	v_fmac_f64_e32 v[26:27], v[14:15], v[2:3]
	v_mul_f64 v[34:35], v[30:31], v[26:27]
	v_mul_f64 v[4:5], v[4:5], -v[14:15]
	ds_read_b128 v[26:29], v43
	s_waitcnt lgkmcnt(2)
	v_mul_f64 v[14:15], v[24:25], v[24:25]
	v_fmac_f64_e32 v[14:15], v[22:23], v[22:23]
	v_div_scale_f64 v[32:33], s[0:1], v[14:15], v[14:15], 1.0
	v_rcp_f64_e32 v[36:37], v[32:33]
	v_fmac_f64_e32 v[4:5], v[16:17], v[2:3]
	v_mul_f64 v[38:39], v[30:31], v[4:5]
	ds_read_b128 v[2:5], v8
	v_fma_f64 v[16:17], -v[32:33], v[36:37], 1.0
	v_fmac_f64_e32 v[36:37], v[36:37], v[16:17]
	v_fma_f64 v[16:17], -v[32:33], v[36:37], 1.0
	v_fmac_f64_e32 v[36:37], v[36:37], v[16:17]
	v_div_scale_f64 v[16:17], vcc, 1.0, v[14:15], 1.0
	v_mul_f64 v[30:31], v[16:17], v[36:37]
	v_fma_f64 v[16:17], -v[32:33], v[30:31], v[16:17]
	s_nop 1
	v_div_fmas_f64 v[16:17], v[16:17], v[36:37], v[30:31]
	v_div_fixup_f64 v[36:37], v[16:17], v[14:15], 1.0
	ds_read_b128 v[14:17], v1 offset:8192
	s_waitcnt lgkmcnt(1)
	v_mul_f64 v[30:31], v[24:25], v[4:5]
	v_fmac_f64_e32 v[30:31], v[2:3], v[22:23]
	v_mul_f64 v[40:41], v[36:37], v[30:31]
	ds_read_b128 v[30:33], v42 offset:4096
	v_mul_f64 v[2:3], v[24:25], -v[2:3]
	v_fmac_f64_e32 v[2:3], v[4:5], v[22:23]
	v_mul_f64 v[36:37], v[36:37], v[2:3]
	ds_read_b128 v[2:5], v42 offset:8192
	s_waitcnt lgkmcnt(1)
	v_mul_f64 v[22:23], v[38:39], -v[32:33]
	v_mul_f64 v[24:25], v[38:39], v[30:31]
	v_fmac_f64_e32 v[22:23], v[30:31], v[34:35]
	v_fmac_f64_e32 v[24:25], v[32:33], v[34:35]
	v_add_f64 v[18:19], v[18:19], -v[22:23]
	v_add_f64 v[20:21], v[20:21], -v[24:25]
	v_mul_f64 v[22:23], v[36:37], -v[28:29]
	v_mul_f64 v[24:25], v[36:37], v[26:27]
	v_fmac_f64_e32 v[22:23], v[26:27], v[40:41]
	v_fmac_f64_e32 v[24:25], v[28:29], v[40:41]
	v_add_f64 v[18:19], v[18:19], -v[22:23]
	v_add_f64 v[20:21], v[20:21], -v[24:25]
	ds_read_b128 v[22:25], v43 offset:8192
	s_waitcnt lgkmcnt(1)
	v_mul_f64 v[26:27], v[38:39], -v[4:5]
	v_fmac_f64_e32 v[26:27], v[2:3], v[34:35]
	v_mul_f64 v[2:3], v[38:39], v[2:3]
	v_fmac_f64_e32 v[2:3], v[4:5], v[34:35]
	v_add_f64 v[14:15], v[14:15], -v[26:27]
	v_add_f64 v[16:17], v[16:17], -v[2:3]
	ds_read_b128 v[2:5], v43 offset:4096
	s_waitcnt lgkmcnt(1)
	v_mul_f64 v[26:27], v[36:37], -v[24:25]
	v_fmac_f64_e32 v[26:27], v[22:23], v[40:41]
	v_mul_f64 v[22:23], v[36:37], v[22:23]
	v_fmac_f64_e32 v[22:23], v[24:25], v[40:41]
	v_add_f64 v[16:17], v[16:17], -v[22:23]
	v_mul_f64 v[22:23], v[38:39], v[12:13]
	v_fma_f64 v[22:23], -v[10:11], v[34:35], v[22:23]
	v_mul_f64 v[10:11], v[38:39], -v[10:11]
	v_fma_f64 v[24:25], -v[12:13], v[34:35], v[10:11]
	s_waitcnt lgkmcnt(0)
	v_mul_f64 v[10:11], v[36:37], v[4:5]
	v_fma_f64 v[10:11], -v[2:3], v[40:41], v[10:11]
	v_mul_f64 v[2:3], v[36:37], -v[2:3]
	v_cmp_gt_u32_e32 vcc, 64, v0
	v_add_f64 v[14:15], v[14:15], -v[26:27]
	v_fma_f64 v[12:13], -v[4:5], v[40:41], v[2:3]
	s_barrier
	ds_write_b128 v9, v[18:21]
	ds_write_b128 v1, v[14:17] offset:8192
	ds_write_b128 v1, v[22:25]
	ds_write_b128 v8, v[10:13]
	s_waitcnt lgkmcnt(0)
	s_barrier
	s_and_saveexec_b64 s[0:1], vcc
	s_cbranch_execz .LBB77_14
; %bb.9:
	v_or_b32_e32 v10, 64, v0
	v_or_b32_e32 v11, 0x2000, v1
	v_cmp_le_i32_e32 vcc, s8, v10
                                        ; implicit-def: $vgpr4_vgpr5
	s_and_saveexec_b64 s[6:7], vcc
	s_xor_b64 s[6:7], exec, s[6:7]
	s_cbranch_execz .LBB77_11
; %bb.10:
	ds_read_b128 v[12:15], v9
	ds_read_b128 v[8:11], v11
                                        ; implicit-def: $vgpr1
	s_waitcnt lgkmcnt(1)
	v_mul_f64 v[2:3], v[14:15], v[14:15]
	v_fmac_f64_e32 v[2:3], v[12:13], v[12:13]
	v_div_scale_f64 v[16:17], s[8:9], v[2:3], v[2:3], 1.0
	v_rcp_f64_e32 v[18:19], v[16:17]
	v_div_scale_f64 v[20:21], vcc, 1.0, v[2:3], 1.0
	s_waitcnt lgkmcnt(0)
	v_mul_f64 v[4:5], v[14:15], v[10:11]
	v_fma_f64 v[22:23], -v[16:17], v[18:19], 1.0
	v_fmac_f64_e32 v[18:19], v[18:19], v[22:23]
	v_fma_f64 v[22:23], -v[16:17], v[18:19], 1.0
	v_fmac_f64_e32 v[18:19], v[18:19], v[22:23]
	v_mul_f64 v[22:23], v[20:21], v[18:19]
	v_fma_f64 v[16:17], -v[16:17], v[22:23], v[20:21]
	v_div_fmas_f64 v[16:17], v[16:17], v[18:19], v[22:23]
	v_fmac_f64_e32 v[4:5], v[8:9], v[12:13]
	v_div_fixup_f64 v[16:17], v[16:17], v[2:3], 1.0
	v_mul_f64 v[2:3], v[16:17], v[4:5]
	v_mul_f64 v[4:5], v[14:15], -v[8:9]
	v_fmac_f64_e32 v[4:5], v[10:11], v[12:13]
	v_mul_f64 v[4:5], v[16:17], v[4:5]
                                        ; implicit-def: $vgpr9
                                        ; implicit-def: $vgpr8
                                        ; implicit-def: $vgpr11
                                        ; implicit-def: $vgpr10
.LBB77_11:
	s_or_saveexec_b64 s[6:7], s[6:7]
	v_mov_b32_e32 v12, v0
	s_xor_b64 exec, exec, s[6:7]
	s_cbranch_execz .LBB77_13
; %bb.12:
	ds_read_b128 v[2:5], v9
	ds_read_b128 v[12:15], v9 offset:1024
	ds_read_b128 v[16:19], v1 offset:1024
	ds_read_b128 v[20:23], v8
	s_waitcnt lgkmcnt(2)
	v_mul_f64 v[24:25], v[4:5], v[12:13]
	v_mul_f64 v[8:9], v[4:5], -v[14:15]
	s_waitcnt lgkmcnt(0)
	v_mul_f64 v[28:29], v[18:19], v[20:21]
	v_fmac_f64_e32 v[24:25], v[14:15], v[2:3]
	v_mul_f64 v[26:27], v[18:19], -v[22:23]
	v_fmac_f64_e32 v[28:29], v[22:23], v[16:17]
	v_fmac_f64_e32 v[8:9], v[12:13], v[2:3]
	;; [unrolled: 1-line block ×3, first 2 shown]
	v_add_f64 v[28:29], v[24:25], -v[28:29]
	v_add_f64 v[8:9], v[8:9], -v[26:27]
	v_mul_f64 v[24:25], v[28:29], v[28:29]
	v_fmac_f64_e32 v[24:25], v[8:9], v[8:9]
	v_div_scale_f64 v[26:27], s[8:9], v[24:25], v[24:25], 1.0
	v_rcp_f64_e32 v[30:31], v[26:27]
	s_nop 0
	v_fma_f64 v[32:33], -v[26:27], v[30:31], 1.0
	v_fmac_f64_e32 v[30:31], v[30:31], v[32:33]
	v_fma_f64 v[32:33], -v[26:27], v[30:31], 1.0
	v_fmac_f64_e32 v[30:31], v[30:31], v[32:33]
	v_div_scale_f64 v[32:33], vcc, 1.0, v[24:25], 1.0
	v_mul_f64 v[34:35], v[32:33], v[30:31]
	v_fma_f64 v[26:27], -v[26:27], v[34:35], v[32:33]
	v_fma_f64 v[32:33], 0, v[28:29], v[8:9]
	s_nop 0
	v_div_fmas_f64 v[26:27], v[26:27], v[30:31], v[34:35]
	v_div_fixup_f64 v[30:31], v[26:27], v[24:25], 1.0
	ds_read_b128 v[24:27], v11
	v_fma_f64 v[8:9], v[8:9], 0, -v[28:29]
	v_mul_f64 v[32:33], v[32:33], v[30:31]
	v_mul_f64 v[8:9], v[8:9], v[30:31]
	ds_read_b128 v[28:31], v11 offset:1024
	s_waitcnt lgkmcnt(1)
	v_mul_f64 v[34:35], v[26:27], -v[14:15]
	v_fmac_f64_e32 v[34:35], v[12:13], v[24:25]
	v_mul_f64 v[12:13], v[12:13], v[26:27]
	v_fmac_f64_e32 v[12:13], v[14:15], v[24:25]
	s_waitcnt lgkmcnt(0)
	v_mul_f64 v[14:15], v[30:31], -v[22:23]
	v_fmac_f64_e32 v[14:15], v[20:21], v[28:29]
	v_mul_f64 v[20:21], v[20:21], v[30:31]
	v_fmac_f64_e32 v[20:21], v[22:23], v[28:29]
	v_add_f64 v[20:21], v[12:13], -v[20:21]
	v_add_f64 v[14:15], v[34:35], -v[14:15]
	v_mul_f64 v[12:13], v[8:9], -v[20:21]
	v_fmac_f64_e32 v[12:13], v[14:15], v[32:33]
	v_mul_f64 v[14:15], v[8:9], v[14:15]
	v_fmac_f64_e32 v[14:15], v[20:21], v[32:33]
	ds_write_b128 v1, v[12:15] offset:6144
	v_mul_f64 v[12:13], v[4:5], -v[30:31]
	v_mul_f64 v[4:5], v[4:5], v[28:29]
	v_fmac_f64_e32 v[12:13], v[28:29], v[2:3]
	v_fmac_f64_e32 v[4:5], v[30:31], v[2:3]
	v_mul_f64 v[2:3], v[18:19], -v[26:27]
	v_mul_f64 v[14:15], v[18:19], v[24:25]
	v_fmac_f64_e32 v[2:3], v[24:25], v[16:17]
	v_fmac_f64_e32 v[14:15], v[26:27], v[16:17]
	v_add_f64 v[12:13], v[12:13], -v[2:3]
	v_add_f64 v[14:15], v[4:5], -v[14:15]
	v_mul_f64 v[2:3], v[8:9], -v[14:15]
	v_mul_f64 v[4:5], v[8:9], v[12:13]
	v_fmac_f64_e32 v[2:3], v[12:13], v[32:33]
	v_fmac_f64_e32 v[4:5], v[14:15], v[32:33]
	v_mov_b32_e32 v12, v10
.LBB77_13:
	s_or_b64 exec, exec, s[6:7]
	v_lshlrev_b32_e32 v1, 4, v12
	ds_write_b128 v1, v[2:5] offset:6144
.LBB77_14:
	s_or_b64 exec, exec, s[0:1]
	s_waitcnt lgkmcnt(0)
	s_barrier
	s_and_saveexec_b64 s[0:1], s[2:3]
	s_cbranch_execz .LBB77_16
; %bb.15:
	v_mov_b32_e32 v1, 0x1800
	v_lshl_or_b32 v0, v0, 4, v1
	ds_read2_b64 v[0:3], v0 offset1:1
	v_lshl_add_u64 v[4:5], v[6:7], 4, s[4:5]
	s_waitcnt lgkmcnt(0)
	global_store_dwordx4 v[4:5], v[0:3], off
.LBB77_16:
	s_endpgm
	.section	.rodata,"a",@progbits
	.p2align	6, 0x0
	.amdhsa_kernel _ZN9rocsparseL44gtsv_nopivot_strided_batch_pcr_shared_kernelILj128E21rocsparse_complex_numIdEEEviiiPKT0_S5_S5_PS3_
		.amdhsa_group_segment_fixed_size 10240
		.amdhsa_private_segment_fixed_size 0
		.amdhsa_kernarg_size 48
		.amdhsa_user_sgpr_count 2
		.amdhsa_user_sgpr_dispatch_ptr 0
		.amdhsa_user_sgpr_queue_ptr 0
		.amdhsa_user_sgpr_kernarg_segment_ptr 1
		.amdhsa_user_sgpr_dispatch_id 0
		.amdhsa_user_sgpr_kernarg_preload_length 0
		.amdhsa_user_sgpr_kernarg_preload_offset 0
		.amdhsa_user_sgpr_private_segment_size 0
		.amdhsa_uses_dynamic_stack 0
		.amdhsa_enable_private_segment 0
		.amdhsa_system_sgpr_workgroup_id_x 1
		.amdhsa_system_sgpr_workgroup_id_y 0
		.amdhsa_system_sgpr_workgroup_id_z 0
		.amdhsa_system_sgpr_workgroup_info 0
		.amdhsa_system_vgpr_workitem_id 0
		.amdhsa_next_free_vgpr 44
		.amdhsa_next_free_sgpr 10
		.amdhsa_accum_offset 44
		.amdhsa_reserve_vcc 1
		.amdhsa_float_round_mode_32 0
		.amdhsa_float_round_mode_16_64 0
		.amdhsa_float_denorm_mode_32 3
		.amdhsa_float_denorm_mode_16_64 3
		.amdhsa_dx10_clamp 1
		.amdhsa_ieee_mode 1
		.amdhsa_fp16_overflow 0
		.amdhsa_tg_split 0
		.amdhsa_exception_fp_ieee_invalid_op 0
		.amdhsa_exception_fp_denorm_src 0
		.amdhsa_exception_fp_ieee_div_zero 0
		.amdhsa_exception_fp_ieee_overflow 0
		.amdhsa_exception_fp_ieee_underflow 0
		.amdhsa_exception_fp_ieee_inexact 0
		.amdhsa_exception_int_div_zero 0
	.end_amdhsa_kernel
	.section	.text._ZN9rocsparseL44gtsv_nopivot_strided_batch_pcr_shared_kernelILj128E21rocsparse_complex_numIdEEEviiiPKT0_S5_S5_PS3_,"axG",@progbits,_ZN9rocsparseL44gtsv_nopivot_strided_batch_pcr_shared_kernelILj128E21rocsparse_complex_numIdEEEviiiPKT0_S5_S5_PS3_,comdat
.Lfunc_end77:
	.size	_ZN9rocsparseL44gtsv_nopivot_strided_batch_pcr_shared_kernelILj128E21rocsparse_complex_numIdEEEviiiPKT0_S5_S5_PS3_, .Lfunc_end77-_ZN9rocsparseL44gtsv_nopivot_strided_batch_pcr_shared_kernelILj128E21rocsparse_complex_numIdEEEviiiPKT0_S5_S5_PS3_
                                        ; -- End function
	.set _ZN9rocsparseL44gtsv_nopivot_strided_batch_pcr_shared_kernelILj128E21rocsparse_complex_numIdEEEviiiPKT0_S5_S5_PS3_.num_vgpr, 44
	.set _ZN9rocsparseL44gtsv_nopivot_strided_batch_pcr_shared_kernelILj128E21rocsparse_complex_numIdEEEviiiPKT0_S5_S5_PS3_.num_agpr, 0
	.set _ZN9rocsparseL44gtsv_nopivot_strided_batch_pcr_shared_kernelILj128E21rocsparse_complex_numIdEEEviiiPKT0_S5_S5_PS3_.numbered_sgpr, 10
	.set _ZN9rocsparseL44gtsv_nopivot_strided_batch_pcr_shared_kernelILj128E21rocsparse_complex_numIdEEEviiiPKT0_S5_S5_PS3_.num_named_barrier, 0
	.set _ZN9rocsparseL44gtsv_nopivot_strided_batch_pcr_shared_kernelILj128E21rocsparse_complex_numIdEEEviiiPKT0_S5_S5_PS3_.private_seg_size, 0
	.set _ZN9rocsparseL44gtsv_nopivot_strided_batch_pcr_shared_kernelILj128E21rocsparse_complex_numIdEEEviiiPKT0_S5_S5_PS3_.uses_vcc, 1
	.set _ZN9rocsparseL44gtsv_nopivot_strided_batch_pcr_shared_kernelILj128E21rocsparse_complex_numIdEEEviiiPKT0_S5_S5_PS3_.uses_flat_scratch, 0
	.set _ZN9rocsparseL44gtsv_nopivot_strided_batch_pcr_shared_kernelILj128E21rocsparse_complex_numIdEEEviiiPKT0_S5_S5_PS3_.has_dyn_sized_stack, 0
	.set _ZN9rocsparseL44gtsv_nopivot_strided_batch_pcr_shared_kernelILj128E21rocsparse_complex_numIdEEEviiiPKT0_S5_S5_PS3_.has_recursion, 0
	.set _ZN9rocsparseL44gtsv_nopivot_strided_batch_pcr_shared_kernelILj128E21rocsparse_complex_numIdEEEviiiPKT0_S5_S5_PS3_.has_indirect_call, 0
	.section	.AMDGPU.csdata,"",@progbits
; Kernel info:
; codeLenInByte = 5152
; TotalNumSgprs: 16
; NumVgprs: 44
; NumAgprs: 0
; TotalNumVgprs: 44
; ScratchSize: 0
; MemoryBound: 1
; FloatMode: 240
; IeeeMode: 1
; LDSByteSize: 10240 bytes/workgroup (compile time only)
; SGPRBlocks: 1
; VGPRBlocks: 5
; NumSGPRsForWavesPerEU: 16
; NumVGPRsForWavesPerEU: 44
; AccumOffset: 44
; Occupancy: 8
; WaveLimiterHint : 0
; COMPUTE_PGM_RSRC2:SCRATCH_EN: 0
; COMPUTE_PGM_RSRC2:USER_SGPR: 2
; COMPUTE_PGM_RSRC2:TRAP_HANDLER: 0
; COMPUTE_PGM_RSRC2:TGID_X_EN: 1
; COMPUTE_PGM_RSRC2:TGID_Y_EN: 0
; COMPUTE_PGM_RSRC2:TGID_Z_EN: 0
; COMPUTE_PGM_RSRC2:TIDIG_COMP_CNT: 0
; COMPUTE_PGM_RSRC3_GFX90A:ACCUM_OFFSET: 10
; COMPUTE_PGM_RSRC3_GFX90A:TG_SPLIT: 0
	.section	.text._ZN9rocsparseL44gtsv_nopivot_strided_batch_pcr_shared_kernelILj256E21rocsparse_complex_numIdEEEviiiPKT0_S5_S5_PS3_,"axG",@progbits,_ZN9rocsparseL44gtsv_nopivot_strided_batch_pcr_shared_kernelILj256E21rocsparse_complex_numIdEEEviiiPKT0_S5_S5_PS3_,comdat
	.globl	_ZN9rocsparseL44gtsv_nopivot_strided_batch_pcr_shared_kernelILj256E21rocsparse_complex_numIdEEEviiiPKT0_S5_S5_PS3_ ; -- Begin function _ZN9rocsparseL44gtsv_nopivot_strided_batch_pcr_shared_kernelILj256E21rocsparse_complex_numIdEEEviiiPKT0_S5_S5_PS3_
	.p2align	8
	.type	_ZN9rocsparseL44gtsv_nopivot_strided_batch_pcr_shared_kernelILj256E21rocsparse_complex_numIdEEEviiiPKT0_S5_S5_PS3_,@function
_ZN9rocsparseL44gtsv_nopivot_strided_batch_pcr_shared_kernelILj256E21rocsparse_complex_numIdEEEviiiPKT0_S5_S5_PS3_: ; @_ZN9rocsparseL44gtsv_nopivot_strided_batch_pcr_shared_kernelILj256E21rocsparse_complex_numIdEEEviiiPKT0_S5_S5_PS3_
; %bb.0:
	s_load_dword s3, s[0:1], 0x8
	s_load_dword s8, s[0:1], 0x0
	v_mov_b64_e32 v[2:3], 0
	v_mov_b64_e32 v[8:9], 0
	;; [unrolled: 1-line block ×3, first 2 shown]
	s_waitcnt lgkmcnt(0)
	s_mul_i32 s4, s3, s2
	v_add_u32_e32 v6, s4, v0
	v_cmp_gt_i32_e64 s[2:3], s8, v0
	v_ashrrev_i32_e32 v7, 31, v6
	s_and_saveexec_b64 s[4:5], s[2:3]
	s_cbranch_execz .LBB78_2
; %bb.1:
	s_load_dwordx2 s[6:7], s[0:1], 0x10
	s_waitcnt lgkmcnt(0)
	v_lshl_add_u64 v[4:5], v[6:7], 4, s[6:7]
	global_load_dwordx4 v[8:11], v[4:5], off
.LBB78_2:
	s_or_b64 exec, exec, s[4:5]
	v_lshlrev_b32_e32 v1, 4, v0
	v_mov_b64_e32 v[4:5], 0
	s_waitcnt vmcnt(0)
	ds_write_b128 v1, v[8:11]
	s_and_saveexec_b64 s[4:5], s[2:3]
	s_cbranch_execz .LBB78_4
; %bb.3:
	s_load_dwordx2 s[6:7], s[0:1], 0x18
	s_waitcnt lgkmcnt(0)
	v_lshl_add_u64 v[2:3], v[6:7], 4, s[6:7]
	global_load_dwordx4 v[2:5], v[2:3], off
.LBB78_4:
	s_or_b64 exec, exec, s[4:5]
	s_load_dwordx2 s[4:5], s[0:1], 0x28
	s_waitcnt vmcnt(0)
	ds_write_b128 v1, v[2:5] offset:4096
	v_mov_b64_e32 v[2:3], 0
	v_mov_b64_e32 v[10:11], 0
	;; [unrolled: 1-line block ×3, first 2 shown]
	s_and_saveexec_b64 s[6:7], s[2:3]
	s_cbranch_execz .LBB78_6
; %bb.5:
	s_load_dwordx2 s[0:1], s[0:1], 0x20
	s_waitcnt lgkmcnt(0)
	v_lshl_add_u64 v[4:5], v[6:7], 4, s[0:1]
	global_load_dwordx4 v[10:13], v[4:5], off
.LBB78_6:
	s_or_b64 exec, exec, s[6:7]
	v_or_b32_e32 v9, 0x1000, v1
	v_or_b32_e32 v8, 0x2000, v1
	v_mov_b64_e32 v[4:5], 0
	s_waitcnt vmcnt(0)
	ds_write_b128 v1, v[10:13] offset:8192
	s_and_saveexec_b64 s[0:1], s[2:3]
	s_cbranch_execz .LBB78_8
; %bb.7:
	s_waitcnt lgkmcnt(0)
	v_lshl_add_u64 v[2:3], v[6:7], 4, s[4:5]
	global_load_dwordx4 v[2:5], v[2:3], off
.LBB78_8:
	s_or_b64 exec, exec, s[0:1]
	s_waitcnt vmcnt(0)
	ds_write_b128 v1, v[2:5] offset:16384
	v_sub_u32_e64 v2, v0, 1 clamp
	v_lshlrev_b32_e32 v42, 4, v2
	s_waitcnt lgkmcnt(0)
	s_barrier
	ds_read_b128 v[2:5], v42 offset:4096
	ds_read_b128 v[10:13], v42
	s_add_i32 s0, s8, -1
	v_add_u32_e32 v14, 1, v0
	v_min_i32_e32 v28, s0, v14
	s_waitcnt lgkmcnt(1)
	v_mul_f64 v[18:19], v[4:5], v[4:5]
	v_fmac_f64_e32 v[18:19], v[2:3], v[2:3]
	v_div_scale_f64 v[20:21], s[6:7], v[18:19], v[18:19], 1.0
	v_rcp_f64_e32 v[22:23], v[20:21]
	ds_read_b128 v[14:17], v1
	v_lshlrev_b32_e32 v43, 4, v28
	v_fma_f64 v[24:25], -v[20:21], v[22:23], 1.0
	v_fmac_f64_e32 v[22:23], v[22:23], v[24:25]
	v_fma_f64 v[24:25], -v[20:21], v[22:23], 1.0
	v_fmac_f64_e32 v[22:23], v[22:23], v[24:25]
	v_div_scale_f64 v[24:25], vcc, 1.0, v[18:19], 1.0
	v_mul_f64 v[26:27], v[24:25], v[22:23]
	v_fma_f64 v[20:21], -v[20:21], v[26:27], v[24:25]
	s_nop 1
	v_div_fmas_f64 v[20:21], v[20:21], v[22:23], v[26:27]
	ds_read_b128 v[22:25], v43 offset:4096
	v_div_fixup_f64 v[30:31], v[20:21], v[18:19], 1.0
	ds_read_b128 v[18:21], v9
	s_waitcnt lgkmcnt(2)
	v_mul_f64 v[26:27], v[4:5], v[16:17]
	v_fmac_f64_e32 v[26:27], v[14:15], v[2:3]
	v_mul_f64 v[34:35], v[30:31], v[26:27]
	v_mul_f64 v[4:5], v[4:5], -v[14:15]
	ds_read_b128 v[26:29], v43
	s_waitcnt lgkmcnt(2)
	v_mul_f64 v[14:15], v[24:25], v[24:25]
	v_fmac_f64_e32 v[14:15], v[22:23], v[22:23]
	v_div_scale_f64 v[32:33], s[6:7], v[14:15], v[14:15], 1.0
	v_rcp_f64_e32 v[36:37], v[32:33]
	v_fmac_f64_e32 v[4:5], v[16:17], v[2:3]
	v_mul_f64 v[38:39], v[30:31], v[4:5]
	ds_read_b128 v[2:5], v8
	v_fma_f64 v[16:17], -v[32:33], v[36:37], 1.0
	v_fmac_f64_e32 v[36:37], v[36:37], v[16:17]
	v_fma_f64 v[16:17], -v[32:33], v[36:37], 1.0
	v_fmac_f64_e32 v[36:37], v[36:37], v[16:17]
	v_div_scale_f64 v[16:17], vcc, 1.0, v[14:15], 1.0
	v_mul_f64 v[30:31], v[16:17], v[36:37]
	v_fma_f64 v[16:17], -v[32:33], v[30:31], v[16:17]
	s_nop 1
	v_div_fmas_f64 v[16:17], v[16:17], v[36:37], v[30:31]
	v_div_fixup_f64 v[36:37], v[16:17], v[14:15], 1.0
	ds_read_b128 v[14:17], v1 offset:16384
	s_waitcnt lgkmcnt(1)
	v_mul_f64 v[30:31], v[24:25], v[4:5]
	v_fmac_f64_e32 v[30:31], v[2:3], v[22:23]
	v_mul_f64 v[40:41], v[36:37], v[30:31]
	ds_read_b128 v[30:33], v42 offset:8192
	v_mul_f64 v[2:3], v[24:25], -v[2:3]
	v_fmac_f64_e32 v[2:3], v[4:5], v[22:23]
	v_mul_f64 v[36:37], v[36:37], v[2:3]
	ds_read_b128 v[2:5], v42 offset:16384
	s_waitcnt lgkmcnt(1)
	v_mul_f64 v[22:23], v[38:39], -v[32:33]
	v_mul_f64 v[24:25], v[38:39], v[30:31]
	v_fmac_f64_e32 v[22:23], v[30:31], v[34:35]
	v_fmac_f64_e32 v[24:25], v[32:33], v[34:35]
	v_add_f64 v[18:19], v[18:19], -v[22:23]
	v_add_f64 v[20:21], v[20:21], -v[24:25]
	v_mul_f64 v[22:23], v[36:37], -v[28:29]
	v_mul_f64 v[24:25], v[36:37], v[26:27]
	v_fmac_f64_e32 v[22:23], v[26:27], v[40:41]
	v_fmac_f64_e32 v[24:25], v[28:29], v[40:41]
	v_add_f64 v[18:19], v[18:19], -v[22:23]
	v_add_f64 v[20:21], v[20:21], -v[24:25]
	ds_read_b128 v[22:25], v43 offset:16384
	s_waitcnt lgkmcnt(1)
	v_mul_f64 v[26:27], v[38:39], -v[4:5]
	v_fmac_f64_e32 v[26:27], v[2:3], v[34:35]
	v_mul_f64 v[2:3], v[38:39], v[2:3]
	v_fmac_f64_e32 v[2:3], v[4:5], v[34:35]
	v_add_f64 v[14:15], v[14:15], -v[26:27]
	v_add_f64 v[16:17], v[16:17], -v[2:3]
	ds_read_b128 v[2:5], v43 offset:8192
	s_waitcnt lgkmcnt(1)
	v_mul_f64 v[26:27], v[36:37], -v[24:25]
	v_fmac_f64_e32 v[26:27], v[22:23], v[40:41]
	v_mul_f64 v[22:23], v[36:37], v[22:23]
	v_fmac_f64_e32 v[22:23], v[24:25], v[40:41]
	v_add_f64 v[16:17], v[16:17], -v[22:23]
	v_mul_f64 v[22:23], v[38:39], v[12:13]
	v_fma_f64 v[22:23], -v[10:11], v[34:35], v[22:23]
	v_mul_f64 v[10:11], v[38:39], -v[10:11]
	v_fma_f64 v[24:25], -v[12:13], v[34:35], v[10:11]
	s_waitcnt lgkmcnt(0)
	v_mul_f64 v[10:11], v[36:37], v[4:5]
	v_fma_f64 v[10:11], -v[2:3], v[40:41], v[10:11]
	v_mul_f64 v[2:3], v[36:37], -v[2:3]
	v_fma_f64 v[12:13], -v[4:5], v[40:41], v[2:3]
	v_sub_u32_e64 v2, v0, 2 clamp
	v_lshlrev_b32_e32 v42, 4, v2
	v_add_f64 v[14:15], v[14:15], -v[26:27]
	s_barrier
	ds_write_b128 v9, v[18:21]
	ds_write_b128 v1, v[14:17] offset:16384
	ds_write_b128 v1, v[22:25]
	ds_write_b128 v8, v[10:13]
	s_waitcnt lgkmcnt(0)
	s_barrier
	ds_read_b128 v[2:5], v42 offset:4096
	ds_read_b128 v[10:13], v42
	v_add_u32_e32 v14, 2, v0
	v_min_i32_e32 v28, s0, v14
	ds_read_b128 v[14:17], v1
	s_waitcnt lgkmcnt(2)
	v_mul_f64 v[18:19], v[4:5], v[4:5]
	v_fmac_f64_e32 v[18:19], v[2:3], v[2:3]
	v_div_scale_f64 v[20:21], s[6:7], v[18:19], v[18:19], 1.0
	v_rcp_f64_e32 v[22:23], v[20:21]
	v_lshlrev_b32_e32 v43, 4, v28
	v_fma_f64 v[24:25], -v[20:21], v[22:23], 1.0
	v_fmac_f64_e32 v[22:23], v[22:23], v[24:25]
	v_fma_f64 v[24:25], -v[20:21], v[22:23], 1.0
	v_fmac_f64_e32 v[22:23], v[22:23], v[24:25]
	v_div_scale_f64 v[24:25], vcc, 1.0, v[18:19], 1.0
	v_mul_f64 v[26:27], v[24:25], v[22:23]
	v_fma_f64 v[20:21], -v[20:21], v[26:27], v[24:25]
	s_nop 1
	v_div_fmas_f64 v[20:21], v[20:21], v[22:23], v[26:27]
	ds_read_b128 v[22:25], v43 offset:4096
	v_div_fixup_f64 v[30:31], v[20:21], v[18:19], 1.0
	ds_read_b128 v[18:21], v9
	s_waitcnt lgkmcnt(2)
	v_mul_f64 v[26:27], v[4:5], v[16:17]
	v_fmac_f64_e32 v[26:27], v[14:15], v[2:3]
	v_mul_f64 v[34:35], v[30:31], v[26:27]
	v_mul_f64 v[4:5], v[4:5], -v[14:15]
	ds_read_b128 v[26:29], v43
	s_waitcnt lgkmcnt(2)
	v_mul_f64 v[14:15], v[24:25], v[24:25]
	v_fmac_f64_e32 v[14:15], v[22:23], v[22:23]
	v_div_scale_f64 v[32:33], s[6:7], v[14:15], v[14:15], 1.0
	v_rcp_f64_e32 v[36:37], v[32:33]
	v_fmac_f64_e32 v[4:5], v[16:17], v[2:3]
	v_mul_f64 v[38:39], v[30:31], v[4:5]
	ds_read_b128 v[2:5], v8
	v_fma_f64 v[16:17], -v[32:33], v[36:37], 1.0
	v_fmac_f64_e32 v[36:37], v[36:37], v[16:17]
	v_fma_f64 v[16:17], -v[32:33], v[36:37], 1.0
	v_fmac_f64_e32 v[36:37], v[36:37], v[16:17]
	v_div_scale_f64 v[16:17], vcc, 1.0, v[14:15], 1.0
	v_mul_f64 v[30:31], v[16:17], v[36:37]
	v_fma_f64 v[16:17], -v[32:33], v[30:31], v[16:17]
	s_nop 1
	v_div_fmas_f64 v[16:17], v[16:17], v[36:37], v[30:31]
	v_div_fixup_f64 v[36:37], v[16:17], v[14:15], 1.0
	ds_read_b128 v[14:17], v1 offset:16384
	s_waitcnt lgkmcnt(1)
	v_mul_f64 v[30:31], v[24:25], v[4:5]
	v_fmac_f64_e32 v[30:31], v[2:3], v[22:23]
	v_mul_f64 v[40:41], v[36:37], v[30:31]
	ds_read_b128 v[30:33], v42 offset:8192
	v_mul_f64 v[2:3], v[24:25], -v[2:3]
	v_fmac_f64_e32 v[2:3], v[4:5], v[22:23]
	v_mul_f64 v[36:37], v[36:37], v[2:3]
	ds_read_b128 v[2:5], v42 offset:16384
	s_waitcnt lgkmcnt(1)
	v_mul_f64 v[22:23], v[38:39], -v[32:33]
	v_mul_f64 v[24:25], v[38:39], v[30:31]
	v_fmac_f64_e32 v[22:23], v[30:31], v[34:35]
	v_fmac_f64_e32 v[24:25], v[32:33], v[34:35]
	v_add_f64 v[18:19], v[18:19], -v[22:23]
	v_add_f64 v[20:21], v[20:21], -v[24:25]
	v_mul_f64 v[22:23], v[36:37], -v[28:29]
	v_mul_f64 v[24:25], v[36:37], v[26:27]
	v_fmac_f64_e32 v[22:23], v[26:27], v[40:41]
	v_fmac_f64_e32 v[24:25], v[28:29], v[40:41]
	v_add_f64 v[18:19], v[18:19], -v[22:23]
	v_add_f64 v[20:21], v[20:21], -v[24:25]
	ds_read_b128 v[22:25], v43 offset:16384
	s_waitcnt lgkmcnt(1)
	v_mul_f64 v[26:27], v[38:39], -v[4:5]
	v_fmac_f64_e32 v[26:27], v[2:3], v[34:35]
	v_mul_f64 v[2:3], v[38:39], v[2:3]
	v_fmac_f64_e32 v[2:3], v[4:5], v[34:35]
	v_add_f64 v[14:15], v[14:15], -v[26:27]
	v_add_f64 v[16:17], v[16:17], -v[2:3]
	ds_read_b128 v[2:5], v43 offset:8192
	s_waitcnt lgkmcnt(1)
	v_mul_f64 v[26:27], v[36:37], -v[24:25]
	v_fmac_f64_e32 v[26:27], v[22:23], v[40:41]
	v_mul_f64 v[22:23], v[36:37], v[22:23]
	v_fmac_f64_e32 v[22:23], v[24:25], v[40:41]
	v_add_f64 v[16:17], v[16:17], -v[22:23]
	v_mul_f64 v[22:23], v[38:39], v[12:13]
	v_fma_f64 v[22:23], -v[10:11], v[34:35], v[22:23]
	v_mul_f64 v[10:11], v[38:39], -v[10:11]
	v_fma_f64 v[24:25], -v[12:13], v[34:35], v[10:11]
	s_waitcnt lgkmcnt(0)
	v_mul_f64 v[10:11], v[36:37], v[4:5]
	v_fma_f64 v[10:11], -v[2:3], v[40:41], v[10:11]
	v_mul_f64 v[2:3], v[36:37], -v[2:3]
	v_fma_f64 v[12:13], -v[4:5], v[40:41], v[2:3]
	v_sub_u32_e64 v2, v0, 4 clamp
	v_lshlrev_b32_e32 v42, 4, v2
	v_add_f64 v[14:15], v[14:15], -v[26:27]
	s_barrier
	ds_write_b128 v9, v[18:21]
	ds_write_b128 v1, v[14:17] offset:16384
	ds_write_b128 v1, v[22:25]
	ds_write_b128 v8, v[10:13]
	s_waitcnt lgkmcnt(0)
	s_barrier
	ds_read_b128 v[2:5], v42 offset:4096
	ds_read_b128 v[10:13], v42
	v_add_u32_e32 v14, 4, v0
	v_min_i32_e32 v28, s0, v14
	ds_read_b128 v[14:17], v1
	s_waitcnt lgkmcnt(2)
	v_mul_f64 v[18:19], v[4:5], v[4:5]
	v_fmac_f64_e32 v[18:19], v[2:3], v[2:3]
	v_div_scale_f64 v[20:21], s[6:7], v[18:19], v[18:19], 1.0
	v_rcp_f64_e32 v[22:23], v[20:21]
	v_lshlrev_b32_e32 v43, 4, v28
	v_fma_f64 v[24:25], -v[20:21], v[22:23], 1.0
	v_fmac_f64_e32 v[22:23], v[22:23], v[24:25]
	v_fma_f64 v[24:25], -v[20:21], v[22:23], 1.0
	v_fmac_f64_e32 v[22:23], v[22:23], v[24:25]
	v_div_scale_f64 v[24:25], vcc, 1.0, v[18:19], 1.0
	v_mul_f64 v[26:27], v[24:25], v[22:23]
	v_fma_f64 v[20:21], -v[20:21], v[26:27], v[24:25]
	s_nop 1
	v_div_fmas_f64 v[20:21], v[20:21], v[22:23], v[26:27]
	ds_read_b128 v[22:25], v43 offset:4096
	v_div_fixup_f64 v[30:31], v[20:21], v[18:19], 1.0
	ds_read_b128 v[18:21], v9
	s_waitcnt lgkmcnt(2)
	v_mul_f64 v[26:27], v[4:5], v[16:17]
	v_fmac_f64_e32 v[26:27], v[14:15], v[2:3]
	v_mul_f64 v[34:35], v[30:31], v[26:27]
	v_mul_f64 v[4:5], v[4:5], -v[14:15]
	ds_read_b128 v[26:29], v43
	s_waitcnt lgkmcnt(2)
	v_mul_f64 v[14:15], v[24:25], v[24:25]
	v_fmac_f64_e32 v[14:15], v[22:23], v[22:23]
	v_div_scale_f64 v[32:33], s[6:7], v[14:15], v[14:15], 1.0
	v_rcp_f64_e32 v[36:37], v[32:33]
	v_fmac_f64_e32 v[4:5], v[16:17], v[2:3]
	v_mul_f64 v[38:39], v[30:31], v[4:5]
	ds_read_b128 v[2:5], v8
	v_fma_f64 v[16:17], -v[32:33], v[36:37], 1.0
	v_fmac_f64_e32 v[36:37], v[36:37], v[16:17]
	v_fma_f64 v[16:17], -v[32:33], v[36:37], 1.0
	v_fmac_f64_e32 v[36:37], v[36:37], v[16:17]
	v_div_scale_f64 v[16:17], vcc, 1.0, v[14:15], 1.0
	v_mul_f64 v[30:31], v[16:17], v[36:37]
	v_fma_f64 v[16:17], -v[32:33], v[30:31], v[16:17]
	s_nop 1
	v_div_fmas_f64 v[16:17], v[16:17], v[36:37], v[30:31]
	v_div_fixup_f64 v[36:37], v[16:17], v[14:15], 1.0
	ds_read_b128 v[14:17], v1 offset:16384
	s_waitcnt lgkmcnt(1)
	v_mul_f64 v[30:31], v[24:25], v[4:5]
	v_fmac_f64_e32 v[30:31], v[2:3], v[22:23]
	v_mul_f64 v[40:41], v[36:37], v[30:31]
	ds_read_b128 v[30:33], v42 offset:8192
	v_mul_f64 v[2:3], v[24:25], -v[2:3]
	v_fmac_f64_e32 v[2:3], v[4:5], v[22:23]
	v_mul_f64 v[36:37], v[36:37], v[2:3]
	ds_read_b128 v[2:5], v42 offset:16384
	s_waitcnt lgkmcnt(1)
	v_mul_f64 v[22:23], v[38:39], -v[32:33]
	v_mul_f64 v[24:25], v[38:39], v[30:31]
	v_fmac_f64_e32 v[22:23], v[30:31], v[34:35]
	v_fmac_f64_e32 v[24:25], v[32:33], v[34:35]
	v_add_f64 v[18:19], v[18:19], -v[22:23]
	v_add_f64 v[20:21], v[20:21], -v[24:25]
	v_mul_f64 v[22:23], v[36:37], -v[28:29]
	v_mul_f64 v[24:25], v[36:37], v[26:27]
	v_fmac_f64_e32 v[22:23], v[26:27], v[40:41]
	v_fmac_f64_e32 v[24:25], v[28:29], v[40:41]
	v_add_f64 v[18:19], v[18:19], -v[22:23]
	v_add_f64 v[20:21], v[20:21], -v[24:25]
	ds_read_b128 v[22:25], v43 offset:16384
	s_waitcnt lgkmcnt(1)
	v_mul_f64 v[26:27], v[38:39], -v[4:5]
	v_fmac_f64_e32 v[26:27], v[2:3], v[34:35]
	v_mul_f64 v[2:3], v[38:39], v[2:3]
	v_fmac_f64_e32 v[2:3], v[4:5], v[34:35]
	v_add_f64 v[14:15], v[14:15], -v[26:27]
	v_add_f64 v[16:17], v[16:17], -v[2:3]
	ds_read_b128 v[2:5], v43 offset:8192
	s_waitcnt lgkmcnt(1)
	v_mul_f64 v[26:27], v[36:37], -v[24:25]
	v_fmac_f64_e32 v[26:27], v[22:23], v[40:41]
	v_mul_f64 v[22:23], v[36:37], v[22:23]
	v_fmac_f64_e32 v[22:23], v[24:25], v[40:41]
	v_add_f64 v[16:17], v[16:17], -v[22:23]
	v_mul_f64 v[22:23], v[38:39], v[12:13]
	v_fma_f64 v[22:23], -v[10:11], v[34:35], v[22:23]
	v_mul_f64 v[10:11], v[38:39], -v[10:11]
	v_fma_f64 v[24:25], -v[12:13], v[34:35], v[10:11]
	s_waitcnt lgkmcnt(0)
	v_mul_f64 v[10:11], v[36:37], v[4:5]
	v_fma_f64 v[10:11], -v[2:3], v[40:41], v[10:11]
	v_mul_f64 v[2:3], v[36:37], -v[2:3]
	v_fma_f64 v[12:13], -v[4:5], v[40:41], v[2:3]
	v_sub_u32_e64 v2, v0, 8 clamp
	v_lshlrev_b32_e32 v42, 4, v2
	v_add_f64 v[14:15], v[14:15], -v[26:27]
	s_barrier
	ds_write_b128 v9, v[18:21]
	ds_write_b128 v1, v[14:17] offset:16384
	ds_write_b128 v1, v[22:25]
	ds_write_b128 v8, v[10:13]
	s_waitcnt lgkmcnt(0)
	s_barrier
	ds_read_b128 v[2:5], v42 offset:4096
	ds_read_b128 v[10:13], v42
	v_add_u32_e32 v14, 8, v0
	v_min_i32_e32 v28, s0, v14
	ds_read_b128 v[14:17], v1
	s_waitcnt lgkmcnt(2)
	v_mul_f64 v[18:19], v[4:5], v[4:5]
	v_fmac_f64_e32 v[18:19], v[2:3], v[2:3]
	v_div_scale_f64 v[20:21], s[6:7], v[18:19], v[18:19], 1.0
	v_rcp_f64_e32 v[22:23], v[20:21]
	v_lshlrev_b32_e32 v43, 4, v28
	v_fma_f64 v[24:25], -v[20:21], v[22:23], 1.0
	v_fmac_f64_e32 v[22:23], v[22:23], v[24:25]
	v_fma_f64 v[24:25], -v[20:21], v[22:23], 1.0
	v_fmac_f64_e32 v[22:23], v[22:23], v[24:25]
	v_div_scale_f64 v[24:25], vcc, 1.0, v[18:19], 1.0
	v_mul_f64 v[26:27], v[24:25], v[22:23]
	v_fma_f64 v[20:21], -v[20:21], v[26:27], v[24:25]
	s_nop 1
	v_div_fmas_f64 v[20:21], v[20:21], v[22:23], v[26:27]
	ds_read_b128 v[22:25], v43 offset:4096
	v_div_fixup_f64 v[30:31], v[20:21], v[18:19], 1.0
	ds_read_b128 v[18:21], v9
	s_waitcnt lgkmcnt(2)
	v_mul_f64 v[26:27], v[4:5], v[16:17]
	v_fmac_f64_e32 v[26:27], v[14:15], v[2:3]
	v_mul_f64 v[34:35], v[30:31], v[26:27]
	v_mul_f64 v[4:5], v[4:5], -v[14:15]
	ds_read_b128 v[26:29], v43
	s_waitcnt lgkmcnt(2)
	v_mul_f64 v[14:15], v[24:25], v[24:25]
	v_fmac_f64_e32 v[14:15], v[22:23], v[22:23]
	v_div_scale_f64 v[32:33], s[6:7], v[14:15], v[14:15], 1.0
	v_rcp_f64_e32 v[36:37], v[32:33]
	v_fmac_f64_e32 v[4:5], v[16:17], v[2:3]
	v_mul_f64 v[38:39], v[30:31], v[4:5]
	ds_read_b128 v[2:5], v8
	v_fma_f64 v[16:17], -v[32:33], v[36:37], 1.0
	v_fmac_f64_e32 v[36:37], v[36:37], v[16:17]
	v_fma_f64 v[16:17], -v[32:33], v[36:37], 1.0
	v_fmac_f64_e32 v[36:37], v[36:37], v[16:17]
	v_div_scale_f64 v[16:17], vcc, 1.0, v[14:15], 1.0
	v_mul_f64 v[30:31], v[16:17], v[36:37]
	v_fma_f64 v[16:17], -v[32:33], v[30:31], v[16:17]
	s_nop 1
	v_div_fmas_f64 v[16:17], v[16:17], v[36:37], v[30:31]
	v_div_fixup_f64 v[36:37], v[16:17], v[14:15], 1.0
	ds_read_b128 v[14:17], v1 offset:16384
	s_waitcnt lgkmcnt(1)
	v_mul_f64 v[30:31], v[24:25], v[4:5]
	v_fmac_f64_e32 v[30:31], v[2:3], v[22:23]
	v_mul_f64 v[40:41], v[36:37], v[30:31]
	ds_read_b128 v[30:33], v42 offset:8192
	v_mul_f64 v[2:3], v[24:25], -v[2:3]
	v_fmac_f64_e32 v[2:3], v[4:5], v[22:23]
	v_mul_f64 v[36:37], v[36:37], v[2:3]
	ds_read_b128 v[2:5], v42 offset:16384
	s_waitcnt lgkmcnt(1)
	v_mul_f64 v[22:23], v[38:39], -v[32:33]
	v_mul_f64 v[24:25], v[38:39], v[30:31]
	v_fmac_f64_e32 v[22:23], v[30:31], v[34:35]
	v_fmac_f64_e32 v[24:25], v[32:33], v[34:35]
	v_add_f64 v[18:19], v[18:19], -v[22:23]
	v_add_f64 v[20:21], v[20:21], -v[24:25]
	v_mul_f64 v[22:23], v[36:37], -v[28:29]
	v_mul_f64 v[24:25], v[36:37], v[26:27]
	v_fmac_f64_e32 v[22:23], v[26:27], v[40:41]
	v_fmac_f64_e32 v[24:25], v[28:29], v[40:41]
	v_add_f64 v[18:19], v[18:19], -v[22:23]
	v_add_f64 v[20:21], v[20:21], -v[24:25]
	ds_read_b128 v[22:25], v43 offset:16384
	s_waitcnt lgkmcnt(1)
	v_mul_f64 v[26:27], v[38:39], -v[4:5]
	v_fmac_f64_e32 v[26:27], v[2:3], v[34:35]
	v_mul_f64 v[2:3], v[38:39], v[2:3]
	v_fmac_f64_e32 v[2:3], v[4:5], v[34:35]
	v_add_f64 v[14:15], v[14:15], -v[26:27]
	v_add_f64 v[16:17], v[16:17], -v[2:3]
	ds_read_b128 v[2:5], v43 offset:8192
	s_waitcnt lgkmcnt(1)
	v_mul_f64 v[26:27], v[36:37], -v[24:25]
	v_fmac_f64_e32 v[26:27], v[22:23], v[40:41]
	v_mul_f64 v[22:23], v[36:37], v[22:23]
	v_fmac_f64_e32 v[22:23], v[24:25], v[40:41]
	v_add_f64 v[16:17], v[16:17], -v[22:23]
	v_mul_f64 v[22:23], v[38:39], v[12:13]
	v_fma_f64 v[22:23], -v[10:11], v[34:35], v[22:23]
	v_mul_f64 v[10:11], v[38:39], -v[10:11]
	v_fma_f64 v[24:25], -v[12:13], v[34:35], v[10:11]
	s_waitcnt lgkmcnt(0)
	v_mul_f64 v[10:11], v[36:37], v[4:5]
	v_fma_f64 v[10:11], -v[2:3], v[40:41], v[10:11]
	v_mul_f64 v[2:3], v[36:37], -v[2:3]
	v_fma_f64 v[12:13], -v[4:5], v[40:41], v[2:3]
	v_sub_u32_e64 v2, v0, 16 clamp
	v_lshlrev_b32_e32 v42, 4, v2
	v_add_f64 v[14:15], v[14:15], -v[26:27]
	s_barrier
	ds_write_b128 v9, v[18:21]
	ds_write_b128 v1, v[14:17] offset:16384
	ds_write_b128 v1, v[22:25]
	ds_write_b128 v8, v[10:13]
	s_waitcnt lgkmcnt(0)
	s_barrier
	ds_read_b128 v[2:5], v42 offset:4096
	ds_read_b128 v[10:13], v42
	v_add_u32_e32 v14, 16, v0
	v_min_i32_e32 v28, s0, v14
	ds_read_b128 v[14:17], v1
	s_waitcnt lgkmcnt(2)
	v_mul_f64 v[18:19], v[4:5], v[4:5]
	v_fmac_f64_e32 v[18:19], v[2:3], v[2:3]
	v_div_scale_f64 v[20:21], s[6:7], v[18:19], v[18:19], 1.0
	v_rcp_f64_e32 v[22:23], v[20:21]
	v_lshlrev_b32_e32 v43, 4, v28
	v_fma_f64 v[24:25], -v[20:21], v[22:23], 1.0
	v_fmac_f64_e32 v[22:23], v[22:23], v[24:25]
	v_fma_f64 v[24:25], -v[20:21], v[22:23], 1.0
	v_fmac_f64_e32 v[22:23], v[22:23], v[24:25]
	v_div_scale_f64 v[24:25], vcc, 1.0, v[18:19], 1.0
	v_mul_f64 v[26:27], v[24:25], v[22:23]
	v_fma_f64 v[20:21], -v[20:21], v[26:27], v[24:25]
	s_nop 1
	v_div_fmas_f64 v[20:21], v[20:21], v[22:23], v[26:27]
	ds_read_b128 v[22:25], v43 offset:4096
	v_div_fixup_f64 v[30:31], v[20:21], v[18:19], 1.0
	ds_read_b128 v[18:21], v9
	s_waitcnt lgkmcnt(2)
	v_mul_f64 v[26:27], v[4:5], v[16:17]
	v_fmac_f64_e32 v[26:27], v[14:15], v[2:3]
	v_mul_f64 v[34:35], v[30:31], v[26:27]
	v_mul_f64 v[4:5], v[4:5], -v[14:15]
	ds_read_b128 v[26:29], v43
	s_waitcnt lgkmcnt(2)
	v_mul_f64 v[14:15], v[24:25], v[24:25]
	v_fmac_f64_e32 v[14:15], v[22:23], v[22:23]
	v_div_scale_f64 v[32:33], s[6:7], v[14:15], v[14:15], 1.0
	v_rcp_f64_e32 v[36:37], v[32:33]
	v_fmac_f64_e32 v[4:5], v[16:17], v[2:3]
	v_mul_f64 v[38:39], v[30:31], v[4:5]
	ds_read_b128 v[2:5], v8
	v_fma_f64 v[16:17], -v[32:33], v[36:37], 1.0
	v_fmac_f64_e32 v[36:37], v[36:37], v[16:17]
	v_fma_f64 v[16:17], -v[32:33], v[36:37], 1.0
	v_fmac_f64_e32 v[36:37], v[36:37], v[16:17]
	v_div_scale_f64 v[16:17], vcc, 1.0, v[14:15], 1.0
	v_mul_f64 v[30:31], v[16:17], v[36:37]
	v_fma_f64 v[16:17], -v[32:33], v[30:31], v[16:17]
	s_nop 1
	v_div_fmas_f64 v[16:17], v[16:17], v[36:37], v[30:31]
	v_div_fixup_f64 v[36:37], v[16:17], v[14:15], 1.0
	ds_read_b128 v[14:17], v1 offset:16384
	s_waitcnt lgkmcnt(1)
	v_mul_f64 v[30:31], v[24:25], v[4:5]
	v_fmac_f64_e32 v[30:31], v[2:3], v[22:23]
	v_mul_f64 v[40:41], v[36:37], v[30:31]
	ds_read_b128 v[30:33], v42 offset:8192
	v_mul_f64 v[2:3], v[24:25], -v[2:3]
	v_fmac_f64_e32 v[2:3], v[4:5], v[22:23]
	v_mul_f64 v[36:37], v[36:37], v[2:3]
	ds_read_b128 v[2:5], v42 offset:16384
	s_waitcnt lgkmcnt(1)
	v_mul_f64 v[22:23], v[38:39], -v[32:33]
	v_mul_f64 v[24:25], v[38:39], v[30:31]
	v_fmac_f64_e32 v[22:23], v[30:31], v[34:35]
	v_fmac_f64_e32 v[24:25], v[32:33], v[34:35]
	v_add_f64 v[18:19], v[18:19], -v[22:23]
	v_add_f64 v[20:21], v[20:21], -v[24:25]
	v_mul_f64 v[22:23], v[36:37], -v[28:29]
	v_mul_f64 v[24:25], v[36:37], v[26:27]
	v_fmac_f64_e32 v[22:23], v[26:27], v[40:41]
	v_fmac_f64_e32 v[24:25], v[28:29], v[40:41]
	v_add_f64 v[18:19], v[18:19], -v[22:23]
	v_add_f64 v[20:21], v[20:21], -v[24:25]
	ds_read_b128 v[22:25], v43 offset:16384
	s_waitcnt lgkmcnt(1)
	v_mul_f64 v[26:27], v[38:39], -v[4:5]
	v_fmac_f64_e32 v[26:27], v[2:3], v[34:35]
	v_mul_f64 v[2:3], v[38:39], v[2:3]
	v_fmac_f64_e32 v[2:3], v[4:5], v[34:35]
	v_add_f64 v[14:15], v[14:15], -v[26:27]
	v_add_f64 v[16:17], v[16:17], -v[2:3]
	ds_read_b128 v[2:5], v43 offset:8192
	s_waitcnt lgkmcnt(1)
	v_mul_f64 v[26:27], v[36:37], -v[24:25]
	v_fmac_f64_e32 v[26:27], v[22:23], v[40:41]
	v_mul_f64 v[22:23], v[36:37], v[22:23]
	v_fmac_f64_e32 v[22:23], v[24:25], v[40:41]
	v_add_f64 v[16:17], v[16:17], -v[22:23]
	v_mul_f64 v[22:23], v[38:39], v[12:13]
	v_fma_f64 v[22:23], -v[10:11], v[34:35], v[22:23]
	v_mul_f64 v[10:11], v[38:39], -v[10:11]
	v_fma_f64 v[24:25], -v[12:13], v[34:35], v[10:11]
	s_waitcnt lgkmcnt(0)
	v_mul_f64 v[10:11], v[36:37], v[4:5]
	v_fma_f64 v[10:11], -v[2:3], v[40:41], v[10:11]
	v_mul_f64 v[2:3], v[36:37], -v[2:3]
	v_fma_f64 v[12:13], -v[4:5], v[40:41], v[2:3]
	v_sub_u32_e64 v2, v0, 32 clamp
	v_lshlrev_b32_e32 v42, 4, v2
	v_add_f64 v[14:15], v[14:15], -v[26:27]
	s_barrier
	ds_write_b128 v9, v[18:21]
	ds_write_b128 v1, v[14:17] offset:16384
	ds_write_b128 v1, v[22:25]
	ds_write_b128 v8, v[10:13]
	s_waitcnt lgkmcnt(0)
	s_barrier
	ds_read_b128 v[2:5], v42 offset:4096
	ds_read_b128 v[10:13], v42
	v_add_u32_e32 v14, 32, v0
	v_min_i32_e32 v28, s0, v14
	ds_read_b128 v[14:17], v1
	s_waitcnt lgkmcnt(2)
	v_mul_f64 v[18:19], v[4:5], v[4:5]
	v_fmac_f64_e32 v[18:19], v[2:3], v[2:3]
	v_div_scale_f64 v[20:21], s[6:7], v[18:19], v[18:19], 1.0
	v_rcp_f64_e32 v[22:23], v[20:21]
	v_lshlrev_b32_e32 v43, 4, v28
	v_fma_f64 v[24:25], -v[20:21], v[22:23], 1.0
	v_fmac_f64_e32 v[22:23], v[22:23], v[24:25]
	v_fma_f64 v[24:25], -v[20:21], v[22:23], 1.0
	v_fmac_f64_e32 v[22:23], v[22:23], v[24:25]
	v_div_scale_f64 v[24:25], vcc, 1.0, v[18:19], 1.0
	v_mul_f64 v[26:27], v[24:25], v[22:23]
	v_fma_f64 v[20:21], -v[20:21], v[26:27], v[24:25]
	s_nop 1
	v_div_fmas_f64 v[20:21], v[20:21], v[22:23], v[26:27]
	ds_read_b128 v[22:25], v43 offset:4096
	v_div_fixup_f64 v[30:31], v[20:21], v[18:19], 1.0
	ds_read_b128 v[18:21], v9
	s_waitcnt lgkmcnt(2)
	v_mul_f64 v[26:27], v[4:5], v[16:17]
	v_fmac_f64_e32 v[26:27], v[14:15], v[2:3]
	v_mul_f64 v[34:35], v[30:31], v[26:27]
	v_mul_f64 v[4:5], v[4:5], -v[14:15]
	ds_read_b128 v[26:29], v43
	s_waitcnt lgkmcnt(2)
	v_mul_f64 v[14:15], v[24:25], v[24:25]
	v_fmac_f64_e32 v[14:15], v[22:23], v[22:23]
	v_div_scale_f64 v[32:33], s[6:7], v[14:15], v[14:15], 1.0
	v_rcp_f64_e32 v[36:37], v[32:33]
	v_fmac_f64_e32 v[4:5], v[16:17], v[2:3]
	v_mul_f64 v[38:39], v[30:31], v[4:5]
	ds_read_b128 v[2:5], v8
	v_fma_f64 v[16:17], -v[32:33], v[36:37], 1.0
	v_fmac_f64_e32 v[36:37], v[36:37], v[16:17]
	v_fma_f64 v[16:17], -v[32:33], v[36:37], 1.0
	v_fmac_f64_e32 v[36:37], v[36:37], v[16:17]
	v_div_scale_f64 v[16:17], vcc, 1.0, v[14:15], 1.0
	v_mul_f64 v[30:31], v[16:17], v[36:37]
	v_fma_f64 v[16:17], -v[32:33], v[30:31], v[16:17]
	s_nop 1
	v_div_fmas_f64 v[16:17], v[16:17], v[36:37], v[30:31]
	v_div_fixup_f64 v[36:37], v[16:17], v[14:15], 1.0
	ds_read_b128 v[14:17], v1 offset:16384
	s_waitcnt lgkmcnt(1)
	v_mul_f64 v[30:31], v[24:25], v[4:5]
	v_fmac_f64_e32 v[30:31], v[2:3], v[22:23]
	v_mul_f64 v[40:41], v[36:37], v[30:31]
	ds_read_b128 v[30:33], v42 offset:8192
	v_mul_f64 v[2:3], v[24:25], -v[2:3]
	v_fmac_f64_e32 v[2:3], v[4:5], v[22:23]
	v_mul_f64 v[36:37], v[36:37], v[2:3]
	ds_read_b128 v[2:5], v42 offset:16384
	s_waitcnt lgkmcnt(1)
	v_mul_f64 v[22:23], v[38:39], -v[32:33]
	v_mul_f64 v[24:25], v[38:39], v[30:31]
	v_fmac_f64_e32 v[22:23], v[30:31], v[34:35]
	v_fmac_f64_e32 v[24:25], v[32:33], v[34:35]
	v_add_f64 v[18:19], v[18:19], -v[22:23]
	v_add_f64 v[20:21], v[20:21], -v[24:25]
	v_mul_f64 v[22:23], v[36:37], -v[28:29]
	v_mul_f64 v[24:25], v[36:37], v[26:27]
	v_fmac_f64_e32 v[22:23], v[26:27], v[40:41]
	v_fmac_f64_e32 v[24:25], v[28:29], v[40:41]
	v_add_f64 v[18:19], v[18:19], -v[22:23]
	v_add_f64 v[20:21], v[20:21], -v[24:25]
	ds_read_b128 v[22:25], v43 offset:16384
	s_waitcnt lgkmcnt(1)
	v_mul_f64 v[26:27], v[38:39], -v[4:5]
	v_fmac_f64_e32 v[26:27], v[2:3], v[34:35]
	v_mul_f64 v[2:3], v[38:39], v[2:3]
	v_fmac_f64_e32 v[2:3], v[4:5], v[34:35]
	v_add_f64 v[14:15], v[14:15], -v[26:27]
	v_add_f64 v[16:17], v[16:17], -v[2:3]
	ds_read_b128 v[2:5], v43 offset:8192
	s_waitcnt lgkmcnt(1)
	v_mul_f64 v[26:27], v[36:37], -v[24:25]
	v_fmac_f64_e32 v[26:27], v[22:23], v[40:41]
	v_mul_f64 v[22:23], v[36:37], v[22:23]
	v_fmac_f64_e32 v[22:23], v[24:25], v[40:41]
	v_add_f64 v[16:17], v[16:17], -v[22:23]
	v_mul_f64 v[22:23], v[38:39], v[12:13]
	v_fma_f64 v[22:23], -v[10:11], v[34:35], v[22:23]
	v_mul_f64 v[10:11], v[38:39], -v[10:11]
	v_fma_f64 v[24:25], -v[12:13], v[34:35], v[10:11]
	s_waitcnt lgkmcnt(0)
	v_mul_f64 v[10:11], v[36:37], v[4:5]
	v_fma_f64 v[10:11], -v[2:3], v[40:41], v[10:11]
	v_mul_f64 v[2:3], v[36:37], -v[2:3]
	v_fma_f64 v[12:13], -v[4:5], v[40:41], v[2:3]
	v_sub_u32_e64 v2, v0, 64 clamp
	v_lshlrev_b32_e32 v42, 4, v2
	v_add_f64 v[14:15], v[14:15], -v[26:27]
	s_barrier
	ds_write_b128 v9, v[18:21]
	ds_write_b128 v1, v[14:17] offset:16384
	ds_write_b128 v1, v[22:25]
	ds_write_b128 v8, v[10:13]
	s_waitcnt lgkmcnt(0)
	s_barrier
	ds_read_b128 v[2:5], v42 offset:4096
	ds_read_b128 v[10:13], v42
	v_add_u32_e32 v14, 64, v0
	v_min_i32_e32 v28, s0, v14
	ds_read_b128 v[14:17], v1
	s_waitcnt lgkmcnt(2)
	v_mul_f64 v[18:19], v[4:5], v[4:5]
	v_fmac_f64_e32 v[18:19], v[2:3], v[2:3]
	v_div_scale_f64 v[20:21], s[6:7], v[18:19], v[18:19], 1.0
	v_rcp_f64_e32 v[22:23], v[20:21]
	v_lshlrev_b32_e32 v43, 4, v28
	v_fma_f64 v[24:25], -v[20:21], v[22:23], 1.0
	v_fmac_f64_e32 v[22:23], v[22:23], v[24:25]
	v_fma_f64 v[24:25], -v[20:21], v[22:23], 1.0
	v_fmac_f64_e32 v[22:23], v[22:23], v[24:25]
	v_div_scale_f64 v[24:25], vcc, 1.0, v[18:19], 1.0
	v_mul_f64 v[26:27], v[24:25], v[22:23]
	v_fma_f64 v[20:21], -v[20:21], v[26:27], v[24:25]
	s_nop 1
	v_div_fmas_f64 v[20:21], v[20:21], v[22:23], v[26:27]
	ds_read_b128 v[22:25], v43 offset:4096
	v_div_fixup_f64 v[30:31], v[20:21], v[18:19], 1.0
	ds_read_b128 v[18:21], v9
	s_waitcnt lgkmcnt(2)
	v_mul_f64 v[26:27], v[4:5], v[16:17]
	v_fmac_f64_e32 v[26:27], v[14:15], v[2:3]
	v_mul_f64 v[34:35], v[30:31], v[26:27]
	v_mul_f64 v[4:5], v[4:5], -v[14:15]
	ds_read_b128 v[26:29], v43
	s_waitcnt lgkmcnt(2)
	v_mul_f64 v[14:15], v[24:25], v[24:25]
	v_fmac_f64_e32 v[14:15], v[22:23], v[22:23]
	v_div_scale_f64 v[32:33], s[0:1], v[14:15], v[14:15], 1.0
	v_rcp_f64_e32 v[36:37], v[32:33]
	v_fmac_f64_e32 v[4:5], v[16:17], v[2:3]
	v_mul_f64 v[38:39], v[30:31], v[4:5]
	ds_read_b128 v[2:5], v8
	v_fma_f64 v[16:17], -v[32:33], v[36:37], 1.0
	v_fmac_f64_e32 v[36:37], v[36:37], v[16:17]
	v_fma_f64 v[16:17], -v[32:33], v[36:37], 1.0
	v_fmac_f64_e32 v[36:37], v[36:37], v[16:17]
	v_div_scale_f64 v[16:17], vcc, 1.0, v[14:15], 1.0
	v_mul_f64 v[30:31], v[16:17], v[36:37]
	v_fma_f64 v[16:17], -v[32:33], v[30:31], v[16:17]
	s_movk_i32 s0, 0x80
	s_nop 0
	v_div_fmas_f64 v[16:17], v[16:17], v[36:37], v[30:31]
	v_div_fixup_f64 v[36:37], v[16:17], v[14:15], 1.0
	ds_read_b128 v[14:17], v1 offset:16384
	s_waitcnt lgkmcnt(1)
	v_mul_f64 v[30:31], v[24:25], v[4:5]
	v_fmac_f64_e32 v[30:31], v[2:3], v[22:23]
	v_mul_f64 v[40:41], v[36:37], v[30:31]
	ds_read_b128 v[30:33], v42 offset:8192
	v_mul_f64 v[2:3], v[24:25], -v[2:3]
	v_fmac_f64_e32 v[2:3], v[4:5], v[22:23]
	v_mul_f64 v[36:37], v[36:37], v[2:3]
	ds_read_b128 v[2:5], v42 offset:16384
	s_waitcnt lgkmcnt(1)
	v_mul_f64 v[22:23], v[38:39], -v[32:33]
	v_mul_f64 v[24:25], v[38:39], v[30:31]
	v_fmac_f64_e32 v[22:23], v[30:31], v[34:35]
	v_fmac_f64_e32 v[24:25], v[32:33], v[34:35]
	v_add_f64 v[18:19], v[18:19], -v[22:23]
	v_add_f64 v[20:21], v[20:21], -v[24:25]
	v_mul_f64 v[22:23], v[36:37], -v[28:29]
	v_mul_f64 v[24:25], v[36:37], v[26:27]
	v_fmac_f64_e32 v[22:23], v[26:27], v[40:41]
	v_fmac_f64_e32 v[24:25], v[28:29], v[40:41]
	v_add_f64 v[18:19], v[18:19], -v[22:23]
	v_add_f64 v[20:21], v[20:21], -v[24:25]
	ds_read_b128 v[22:25], v43 offset:16384
	s_waitcnt lgkmcnt(1)
	v_mul_f64 v[26:27], v[38:39], -v[4:5]
	v_fmac_f64_e32 v[26:27], v[2:3], v[34:35]
	v_mul_f64 v[2:3], v[38:39], v[2:3]
	v_fmac_f64_e32 v[2:3], v[4:5], v[34:35]
	v_add_f64 v[14:15], v[14:15], -v[26:27]
	v_add_f64 v[16:17], v[16:17], -v[2:3]
	ds_read_b128 v[2:5], v43 offset:8192
	s_waitcnt lgkmcnt(1)
	v_mul_f64 v[26:27], v[36:37], -v[24:25]
	v_fmac_f64_e32 v[26:27], v[22:23], v[40:41]
	v_mul_f64 v[22:23], v[36:37], v[22:23]
	v_fmac_f64_e32 v[22:23], v[24:25], v[40:41]
	v_add_f64 v[16:17], v[16:17], -v[22:23]
	v_mul_f64 v[22:23], v[38:39], v[12:13]
	v_fma_f64 v[22:23], -v[10:11], v[34:35], v[22:23]
	v_mul_f64 v[10:11], v[38:39], -v[10:11]
	v_fma_f64 v[24:25], -v[12:13], v[34:35], v[10:11]
	s_waitcnt lgkmcnt(0)
	v_mul_f64 v[10:11], v[36:37], v[4:5]
	v_fma_f64 v[10:11], -v[2:3], v[40:41], v[10:11]
	v_mul_f64 v[2:3], v[36:37], -v[2:3]
	v_cmp_gt_u32_e32 vcc, s0, v0
	v_add_f64 v[14:15], v[14:15], -v[26:27]
	v_fma_f64 v[12:13], -v[4:5], v[40:41], v[2:3]
	s_barrier
	ds_write_b128 v9, v[18:21]
	ds_write_b128 v1, v[14:17] offset:16384
	ds_write_b128 v1, v[22:25]
	ds_write_b128 v8, v[10:13]
	s_waitcnt lgkmcnt(0)
	s_barrier
	s_and_saveexec_b64 s[0:1], vcc
	s_cbranch_execz .LBB78_14
; %bb.9:
	v_or_b32_e32 v10, 0x80, v0
	v_or_b32_e32 v11, 0x4000, v1
	v_cmp_le_i32_e32 vcc, s8, v10
                                        ; implicit-def: $vgpr4_vgpr5
	s_and_saveexec_b64 s[6:7], vcc
	s_xor_b64 s[6:7], exec, s[6:7]
	s_cbranch_execz .LBB78_11
; %bb.10:
	ds_read_b128 v[12:15], v9
	ds_read_b128 v[8:11], v11
                                        ; implicit-def: $vgpr1
	s_waitcnt lgkmcnt(1)
	v_mul_f64 v[2:3], v[14:15], v[14:15]
	v_fmac_f64_e32 v[2:3], v[12:13], v[12:13]
	v_div_scale_f64 v[16:17], s[8:9], v[2:3], v[2:3], 1.0
	v_rcp_f64_e32 v[18:19], v[16:17]
	v_div_scale_f64 v[20:21], vcc, 1.0, v[2:3], 1.0
	s_waitcnt lgkmcnt(0)
	v_mul_f64 v[4:5], v[14:15], v[10:11]
	v_fma_f64 v[22:23], -v[16:17], v[18:19], 1.0
	v_fmac_f64_e32 v[18:19], v[18:19], v[22:23]
	v_fma_f64 v[22:23], -v[16:17], v[18:19], 1.0
	v_fmac_f64_e32 v[18:19], v[18:19], v[22:23]
	v_mul_f64 v[22:23], v[20:21], v[18:19]
	v_fma_f64 v[16:17], -v[16:17], v[22:23], v[20:21]
	v_div_fmas_f64 v[16:17], v[16:17], v[18:19], v[22:23]
	v_fmac_f64_e32 v[4:5], v[8:9], v[12:13]
	v_div_fixup_f64 v[16:17], v[16:17], v[2:3], 1.0
	v_mul_f64 v[2:3], v[16:17], v[4:5]
	v_mul_f64 v[4:5], v[14:15], -v[8:9]
	v_fmac_f64_e32 v[4:5], v[10:11], v[12:13]
	v_mul_f64 v[4:5], v[16:17], v[4:5]
                                        ; implicit-def: $vgpr9
                                        ; implicit-def: $vgpr8
                                        ; implicit-def: $vgpr11
                                        ; implicit-def: $vgpr10
.LBB78_11:
	s_or_saveexec_b64 s[6:7], s[6:7]
	v_mov_b32_e32 v12, v0
	s_xor_b64 exec, exec, s[6:7]
	s_cbranch_execz .LBB78_13
; %bb.12:
	ds_read_b128 v[2:5], v9
	ds_read_b128 v[12:15], v9 offset:2048
	ds_read_b128 v[16:19], v1 offset:2048
	ds_read_b128 v[20:23], v8
	s_waitcnt lgkmcnt(2)
	v_mul_f64 v[24:25], v[4:5], v[12:13]
	v_mul_f64 v[8:9], v[4:5], -v[14:15]
	s_waitcnt lgkmcnt(0)
	v_mul_f64 v[28:29], v[18:19], v[20:21]
	v_fmac_f64_e32 v[24:25], v[14:15], v[2:3]
	v_mul_f64 v[26:27], v[18:19], -v[22:23]
	v_fmac_f64_e32 v[28:29], v[22:23], v[16:17]
	v_fmac_f64_e32 v[8:9], v[12:13], v[2:3]
	;; [unrolled: 1-line block ×3, first 2 shown]
	v_add_f64 v[28:29], v[24:25], -v[28:29]
	v_add_f64 v[8:9], v[8:9], -v[26:27]
	v_mul_f64 v[24:25], v[28:29], v[28:29]
	v_fmac_f64_e32 v[24:25], v[8:9], v[8:9]
	v_div_scale_f64 v[26:27], s[8:9], v[24:25], v[24:25], 1.0
	v_rcp_f64_e32 v[30:31], v[26:27]
	s_nop 0
	v_fma_f64 v[32:33], -v[26:27], v[30:31], 1.0
	v_fmac_f64_e32 v[30:31], v[30:31], v[32:33]
	v_fma_f64 v[32:33], -v[26:27], v[30:31], 1.0
	v_fmac_f64_e32 v[30:31], v[30:31], v[32:33]
	v_div_scale_f64 v[32:33], vcc, 1.0, v[24:25], 1.0
	v_mul_f64 v[34:35], v[32:33], v[30:31]
	v_fma_f64 v[26:27], -v[26:27], v[34:35], v[32:33]
	v_fma_f64 v[32:33], 0, v[28:29], v[8:9]
	s_nop 0
	v_div_fmas_f64 v[26:27], v[26:27], v[30:31], v[34:35]
	v_div_fixup_f64 v[30:31], v[26:27], v[24:25], 1.0
	ds_read_b128 v[24:27], v11
	v_fma_f64 v[8:9], v[8:9], 0, -v[28:29]
	v_mul_f64 v[32:33], v[32:33], v[30:31]
	v_mul_f64 v[8:9], v[8:9], v[30:31]
	ds_read_b128 v[28:31], v11 offset:2048
	s_waitcnt lgkmcnt(1)
	v_mul_f64 v[34:35], v[26:27], -v[14:15]
	v_fmac_f64_e32 v[34:35], v[12:13], v[24:25]
	v_mul_f64 v[12:13], v[12:13], v[26:27]
	v_fmac_f64_e32 v[12:13], v[14:15], v[24:25]
	s_waitcnt lgkmcnt(0)
	v_mul_f64 v[14:15], v[30:31], -v[22:23]
	v_fmac_f64_e32 v[14:15], v[20:21], v[28:29]
	v_mul_f64 v[20:21], v[20:21], v[30:31]
	v_fmac_f64_e32 v[20:21], v[22:23], v[28:29]
	v_add_f64 v[20:21], v[12:13], -v[20:21]
	v_add_f64 v[14:15], v[34:35], -v[14:15]
	v_mul_f64 v[12:13], v[8:9], -v[20:21]
	v_fmac_f64_e32 v[12:13], v[14:15], v[32:33]
	v_mul_f64 v[14:15], v[8:9], v[14:15]
	v_fmac_f64_e32 v[14:15], v[20:21], v[32:33]
	ds_write_b128 v1, v[12:15] offset:12288
	v_mul_f64 v[12:13], v[4:5], -v[30:31]
	v_mul_f64 v[4:5], v[4:5], v[28:29]
	v_fmac_f64_e32 v[12:13], v[28:29], v[2:3]
	v_fmac_f64_e32 v[4:5], v[30:31], v[2:3]
	v_mul_f64 v[2:3], v[18:19], -v[26:27]
	v_mul_f64 v[14:15], v[18:19], v[24:25]
	v_fmac_f64_e32 v[2:3], v[24:25], v[16:17]
	v_fmac_f64_e32 v[14:15], v[26:27], v[16:17]
	v_add_f64 v[12:13], v[12:13], -v[2:3]
	v_add_f64 v[14:15], v[4:5], -v[14:15]
	v_mul_f64 v[2:3], v[8:9], -v[14:15]
	v_mul_f64 v[4:5], v[8:9], v[12:13]
	v_fmac_f64_e32 v[2:3], v[12:13], v[32:33]
	v_fmac_f64_e32 v[4:5], v[14:15], v[32:33]
	v_mov_b32_e32 v12, v10
.LBB78_13:
	s_or_b64 exec, exec, s[6:7]
	v_lshlrev_b32_e32 v1, 4, v12
	ds_write_b128 v1, v[2:5] offset:12288
.LBB78_14:
	s_or_b64 exec, exec, s[0:1]
	s_waitcnt lgkmcnt(0)
	s_barrier
	s_and_saveexec_b64 s[0:1], s[2:3]
	s_cbranch_execz .LBB78_16
; %bb.15:
	v_mov_b32_e32 v1, 0x3000
	v_lshl_or_b32 v0, v0, 4, v1
	ds_read2_b64 v[0:3], v0 offset1:1
	v_lshl_add_u64 v[4:5], v[6:7], 4, s[4:5]
	s_waitcnt lgkmcnt(0)
	global_store_dwordx4 v[4:5], v[0:3], off
.LBB78_16:
	s_endpgm
	.section	.rodata,"a",@progbits
	.p2align	6, 0x0
	.amdhsa_kernel _ZN9rocsparseL44gtsv_nopivot_strided_batch_pcr_shared_kernelILj256E21rocsparse_complex_numIdEEEviiiPKT0_S5_S5_PS3_
		.amdhsa_group_segment_fixed_size 20480
		.amdhsa_private_segment_fixed_size 0
		.amdhsa_kernarg_size 48
		.amdhsa_user_sgpr_count 2
		.amdhsa_user_sgpr_dispatch_ptr 0
		.amdhsa_user_sgpr_queue_ptr 0
		.amdhsa_user_sgpr_kernarg_segment_ptr 1
		.amdhsa_user_sgpr_dispatch_id 0
		.amdhsa_user_sgpr_kernarg_preload_length 0
		.amdhsa_user_sgpr_kernarg_preload_offset 0
		.amdhsa_user_sgpr_private_segment_size 0
		.amdhsa_uses_dynamic_stack 0
		.amdhsa_enable_private_segment 0
		.amdhsa_system_sgpr_workgroup_id_x 1
		.amdhsa_system_sgpr_workgroup_id_y 0
		.amdhsa_system_sgpr_workgroup_id_z 0
		.amdhsa_system_sgpr_workgroup_info 0
		.amdhsa_system_vgpr_workitem_id 0
		.amdhsa_next_free_vgpr 44
		.amdhsa_next_free_sgpr 10
		.amdhsa_accum_offset 44
		.amdhsa_reserve_vcc 1
		.amdhsa_float_round_mode_32 0
		.amdhsa_float_round_mode_16_64 0
		.amdhsa_float_denorm_mode_32 3
		.amdhsa_float_denorm_mode_16_64 3
		.amdhsa_dx10_clamp 1
		.amdhsa_ieee_mode 1
		.amdhsa_fp16_overflow 0
		.amdhsa_tg_split 0
		.amdhsa_exception_fp_ieee_invalid_op 0
		.amdhsa_exception_fp_denorm_src 0
		.amdhsa_exception_fp_ieee_div_zero 0
		.amdhsa_exception_fp_ieee_overflow 0
		.amdhsa_exception_fp_ieee_underflow 0
		.amdhsa_exception_fp_ieee_inexact 0
		.amdhsa_exception_int_div_zero 0
	.end_amdhsa_kernel
	.section	.text._ZN9rocsparseL44gtsv_nopivot_strided_batch_pcr_shared_kernelILj256E21rocsparse_complex_numIdEEEviiiPKT0_S5_S5_PS3_,"axG",@progbits,_ZN9rocsparseL44gtsv_nopivot_strided_batch_pcr_shared_kernelILj256E21rocsparse_complex_numIdEEEviiiPKT0_S5_S5_PS3_,comdat
.Lfunc_end78:
	.size	_ZN9rocsparseL44gtsv_nopivot_strided_batch_pcr_shared_kernelILj256E21rocsparse_complex_numIdEEEviiiPKT0_S5_S5_PS3_, .Lfunc_end78-_ZN9rocsparseL44gtsv_nopivot_strided_batch_pcr_shared_kernelILj256E21rocsparse_complex_numIdEEEviiiPKT0_S5_S5_PS3_
                                        ; -- End function
	.set _ZN9rocsparseL44gtsv_nopivot_strided_batch_pcr_shared_kernelILj256E21rocsparse_complex_numIdEEEviiiPKT0_S5_S5_PS3_.num_vgpr, 44
	.set _ZN9rocsparseL44gtsv_nopivot_strided_batch_pcr_shared_kernelILj256E21rocsparse_complex_numIdEEEviiiPKT0_S5_S5_PS3_.num_agpr, 0
	.set _ZN9rocsparseL44gtsv_nopivot_strided_batch_pcr_shared_kernelILj256E21rocsparse_complex_numIdEEEviiiPKT0_S5_S5_PS3_.numbered_sgpr, 10
	.set _ZN9rocsparseL44gtsv_nopivot_strided_batch_pcr_shared_kernelILj256E21rocsparse_complex_numIdEEEviiiPKT0_S5_S5_PS3_.num_named_barrier, 0
	.set _ZN9rocsparseL44gtsv_nopivot_strided_batch_pcr_shared_kernelILj256E21rocsparse_complex_numIdEEEviiiPKT0_S5_S5_PS3_.private_seg_size, 0
	.set _ZN9rocsparseL44gtsv_nopivot_strided_batch_pcr_shared_kernelILj256E21rocsparse_complex_numIdEEEviiiPKT0_S5_S5_PS3_.uses_vcc, 1
	.set _ZN9rocsparseL44gtsv_nopivot_strided_batch_pcr_shared_kernelILj256E21rocsparse_complex_numIdEEEviiiPKT0_S5_S5_PS3_.uses_flat_scratch, 0
	.set _ZN9rocsparseL44gtsv_nopivot_strided_batch_pcr_shared_kernelILj256E21rocsparse_complex_numIdEEEviiiPKT0_S5_S5_PS3_.has_dyn_sized_stack, 0
	.set _ZN9rocsparseL44gtsv_nopivot_strided_batch_pcr_shared_kernelILj256E21rocsparse_complex_numIdEEEviiiPKT0_S5_S5_PS3_.has_recursion, 0
	.set _ZN9rocsparseL44gtsv_nopivot_strided_batch_pcr_shared_kernelILj256E21rocsparse_complex_numIdEEEviiiPKT0_S5_S5_PS3_.has_indirect_call, 0
	.section	.AMDGPU.csdata,"",@progbits
; Kernel info:
; codeLenInByte = 5844
; TotalNumSgprs: 16
; NumVgprs: 44
; NumAgprs: 0
; TotalNumVgprs: 44
; ScratchSize: 0
; MemoryBound: 1
; FloatMode: 240
; IeeeMode: 1
; LDSByteSize: 20480 bytes/workgroup (compile time only)
; SGPRBlocks: 1
; VGPRBlocks: 5
; NumSGPRsForWavesPerEU: 16
; NumVGPRsForWavesPerEU: 44
; AccumOffset: 44
; Occupancy: 8
; WaveLimiterHint : 0
; COMPUTE_PGM_RSRC2:SCRATCH_EN: 0
; COMPUTE_PGM_RSRC2:USER_SGPR: 2
; COMPUTE_PGM_RSRC2:TRAP_HANDLER: 0
; COMPUTE_PGM_RSRC2:TGID_X_EN: 1
; COMPUTE_PGM_RSRC2:TGID_Y_EN: 0
; COMPUTE_PGM_RSRC2:TGID_Z_EN: 0
; COMPUTE_PGM_RSRC2:TIDIG_COMP_CNT: 0
; COMPUTE_PGM_RSRC3_GFX90A:ACCUM_OFFSET: 10
; COMPUTE_PGM_RSRC3_GFX90A:TG_SPLIT: 0
	.section	.text._ZN9rocsparseL44gtsv_nopivot_strided_batch_pcr_shared_kernelILj512E21rocsparse_complex_numIdEEEviiiPKT0_S5_S5_PS3_,"axG",@progbits,_ZN9rocsparseL44gtsv_nopivot_strided_batch_pcr_shared_kernelILj512E21rocsparse_complex_numIdEEEviiiPKT0_S5_S5_PS3_,comdat
	.globl	_ZN9rocsparseL44gtsv_nopivot_strided_batch_pcr_shared_kernelILj512E21rocsparse_complex_numIdEEEviiiPKT0_S5_S5_PS3_ ; -- Begin function _ZN9rocsparseL44gtsv_nopivot_strided_batch_pcr_shared_kernelILj512E21rocsparse_complex_numIdEEEviiiPKT0_S5_S5_PS3_
	.p2align	8
	.type	_ZN9rocsparseL44gtsv_nopivot_strided_batch_pcr_shared_kernelILj512E21rocsparse_complex_numIdEEEviiiPKT0_S5_S5_PS3_,@function
_ZN9rocsparseL44gtsv_nopivot_strided_batch_pcr_shared_kernelILj512E21rocsparse_complex_numIdEEEviiiPKT0_S5_S5_PS3_: ; @_ZN9rocsparseL44gtsv_nopivot_strided_batch_pcr_shared_kernelILj512E21rocsparse_complex_numIdEEEviiiPKT0_S5_S5_PS3_
; %bb.0:
	s_load_dword s3, s[0:1], 0x8
	s_load_dword s8, s[0:1], 0x0
	v_mov_b64_e32 v[2:3], 0
	v_mov_b64_e32 v[4:5], 0
	;; [unrolled: 1-line block ×3, first 2 shown]
	s_waitcnt lgkmcnt(0)
	s_mul_i32 s4, s3, s2
	v_add_u32_e32 v8, s4, v0
	v_cmp_gt_i32_e64 s[2:3], s8, v0
	v_ashrrev_i32_e32 v9, 31, v8
	s_and_saveexec_b64 s[4:5], s[2:3]
	s_cbranch_execz .LBB79_2
; %bb.1:
	s_load_dwordx2 s[6:7], s[0:1], 0x10
	s_waitcnt lgkmcnt(0)
	v_lshl_add_u64 v[4:5], v[8:9], 4, s[6:7]
	global_load_dwordx4 v[4:7], v[4:5], off
.LBB79_2:
	s_or_b64 exec, exec, s[4:5]
	v_lshlrev_b32_e32 v1, 4, v0
	s_waitcnt vmcnt(0)
	ds_write_b128 v1, v[4:7]
	v_mov_b64_e32 v[4:5], 0
	s_and_saveexec_b64 s[4:5], s[2:3]
	s_cbranch_execz .LBB79_4
; %bb.3:
	s_load_dwordx2 s[6:7], s[0:1], 0x18
	s_waitcnt lgkmcnt(0)
	v_lshl_add_u64 v[2:3], v[8:9], 4, s[6:7]
	global_load_dwordx4 v[2:5], v[2:3], off
.LBB79_4:
	s_or_b64 exec, exec, s[4:5]
	s_load_dwordx2 s[4:5], s[0:1], 0x28
	s_waitcnt vmcnt(0)
	ds_write_b128 v1, v[2:5] offset:8192
	v_mov_b64_e32 v[2:3], 0
	v_mov_b64_e32 v[4:5], 0
	;; [unrolled: 1-line block ×3, first 2 shown]
	s_and_saveexec_b64 s[6:7], s[2:3]
	s_cbranch_execz .LBB79_6
; %bb.5:
	s_load_dwordx2 s[0:1], s[0:1], 0x20
	s_waitcnt lgkmcnt(0)
	v_lshl_add_u64 v[4:5], v[8:9], 4, s[0:1]
	global_load_dwordx4 v[4:7], v[4:5], off
.LBB79_6:
	s_or_b64 exec, exec, s[6:7]
	v_or_b32_e32 v11, 0x2000, v1
	v_or_b32_e32 v10, 0x4000, v1
	s_waitcnt vmcnt(0)
	ds_write_b128 v1, v[4:7] offset:16384
	v_mov_b64_e32 v[4:5], 0
	s_and_saveexec_b64 s[0:1], s[2:3]
	s_cbranch_execz .LBB79_8
; %bb.7:
	s_waitcnt lgkmcnt(0)
	v_lshl_add_u64 v[2:3], v[8:9], 4, s[4:5]
	global_load_dwordx4 v[2:5], v[2:3], off
.LBB79_8:
	s_or_b64 exec, exec, s[0:1]
	s_waitcnt vmcnt(0)
	ds_write_b128 v1, v[2:5] offset:32768
	v_sub_u32_e64 v2, v0, 1 clamp
	v_lshlrev_b32_e32 v42, 4, v2
	s_waitcnt lgkmcnt(0)
	s_barrier
	ds_read_b128 v[2:5], v42 offset:8192
	s_add_i32 s0, s8, -1
	v_add_u32_e32 v16, 1, v0
	v_min_i32_e32 v28, s0, v16
	ds_read_b128 v[16:19], v1
	s_waitcnt lgkmcnt(1)
	v_mul_f64 v[6:7], v[4:5], v[4:5]
	v_fmac_f64_e32 v[6:7], v[2:3], v[2:3]
	v_div_scale_f64 v[20:21], s[6:7], v[6:7], v[6:7], 1.0
	v_rcp_f64_e32 v[22:23], v[20:21]
	v_lshlrev_b32_e32 v40, 4, v28
	ds_read_b128 v[12:15], v42 offset:16384
	s_waitcnt lgkmcnt(1)
	v_mul_f64 v[28:29], v[4:5], v[18:19]
	v_fma_f64 v[24:25], -v[20:21], v[22:23], 1.0
	v_fmac_f64_e32 v[22:23], v[22:23], v[24:25]
	v_fma_f64 v[24:25], -v[20:21], v[22:23], 1.0
	v_fmac_f64_e32 v[22:23], v[22:23], v[24:25]
	v_div_scale_f64 v[24:25], vcc, 1.0, v[6:7], 1.0
	v_mul_f64 v[26:27], v[24:25], v[22:23]
	v_fma_f64 v[20:21], -v[20:21], v[26:27], v[24:25]
	v_mul_f64 v[4:5], v[4:5], -v[16:17]
	s_nop 0
	v_div_fmas_f64 v[20:21], v[20:21], v[22:23], v[26:27]
	v_div_fixup_f64 v[6:7], v[20:21], v[6:7], 1.0
	ds_read_b128 v[20:23], v40 offset:8192
	ds_read_b128 v[24:27], v10
	v_fmac_f64_e32 v[28:29], v[16:17], v[2:3]
	v_fmac_f64_e32 v[4:5], v[18:19], v[2:3]
	v_mul_f64 v[32:33], v[6:7], v[28:29]
	s_waitcnt lgkmcnt(1)
	v_mul_f64 v[34:35], v[22:23], v[22:23]
	v_fmac_f64_e32 v[34:35], v[20:21], v[20:21]
	v_div_scale_f64 v[36:37], s[6:7], v[34:35], v[34:35], 1.0
	v_rcp_f64_e32 v[38:39], v[36:37]
	v_mul_f64 v[6:7], v[6:7], v[4:5]
	ds_read_b128 v[28:31], v40 offset:16384
	s_movk_i32 s1, 0x80
	v_fma_f64 v[2:3], -v[36:37], v[38:39], 1.0
	v_fmac_f64_e32 v[38:39], v[38:39], v[2:3]
	v_fma_f64 v[2:3], -v[36:37], v[38:39], 1.0
	v_fmac_f64_e32 v[38:39], v[38:39], v[2:3]
	v_div_scale_f64 v[2:3], vcc, 1.0, v[34:35], 1.0
	v_mul_f64 v[4:5], v[2:3], v[38:39]
	v_fma_f64 v[2:3], -v[36:37], v[4:5], v[2:3]
	s_nop 1
	v_div_fmas_f64 v[2:3], v[2:3], v[38:39], v[4:5]
	s_waitcnt lgkmcnt(1)
	v_mul_f64 v[4:5], v[22:23], v[26:27]
	v_div_fixup_f64 v[2:3], v[2:3], v[34:35], 1.0
	v_fmac_f64_e32 v[4:5], v[24:25], v[20:21]
	v_mul_f64 v[34:35], v[2:3], v[4:5]
	v_mul_f64 v[4:5], v[22:23], -v[24:25]
	v_fmac_f64_e32 v[4:5], v[26:27], v[20:21]
	v_mul_f64 v[36:37], v[2:3], v[4:5]
	ds_read_b128 v[2:5], v11
	v_mul_f64 v[20:21], v[6:7], -v[14:15]
	v_mul_f64 v[22:23], v[6:7], v[12:13]
	v_fmac_f64_e32 v[20:21], v[12:13], v[32:33]
	v_fmac_f64_e32 v[22:23], v[14:15], v[32:33]
	ds_read_b128 v[12:15], v40
	ds_read_b128 v[16:19], v1 offset:32768
	s_waitcnt lgkmcnt(2)
	v_add_f64 v[24:25], v[2:3], -v[20:21]
	v_add_f64 v[26:27], v[4:5], -v[22:23]
	ds_read_b128 v[2:5], v40 offset:32768
	ds_read_b128 v[20:23], v42 offset:32768
	s_waitcnt lgkmcnt(3)
	v_mul_f64 v[38:39], v[36:37], -v[14:15]
	v_mul_f64 v[40:41], v[36:37], v[12:13]
	v_fmac_f64_e32 v[38:39], v[12:13], v[34:35]
	v_fmac_f64_e32 v[40:41], v[14:15], v[34:35]
	v_add_f64 v[12:13], v[24:25], -v[38:39]
	v_add_f64 v[14:15], v[26:27], -v[40:41]
	ds_read_b128 v[24:27], v42
	s_waitcnt lgkmcnt(1)
	v_mul_f64 v[38:39], v[6:7], -v[22:23]
	v_fmac_f64_e32 v[38:39], v[20:21], v[32:33]
	v_mul_f64 v[20:21], v[6:7], v[20:21]
	v_fmac_f64_e32 v[20:21], v[22:23], v[32:33]
	v_add_f64 v[18:19], v[18:19], -v[20:21]
	v_mul_f64 v[20:21], v[36:37], -v[4:5]
	v_add_f64 v[16:17], v[16:17], -v[38:39]
	v_fmac_f64_e32 v[20:21], v[2:3], v[34:35]
	v_mul_f64 v[22:23], v[36:37], v[2:3]
	v_fmac_f64_e32 v[22:23], v[4:5], v[34:35]
	v_add_f64 v[2:3], v[16:17], -v[20:21]
	s_waitcnt lgkmcnt(0)
	v_mul_f64 v[16:17], v[6:7], v[26:27]
	v_mul_f64 v[6:7], v[6:7], -v[24:25]
	v_add_f64 v[4:5], v[18:19], -v[22:23]
	v_fma_f64 v[18:19], -v[26:27], v[32:33], v[6:7]
	v_mul_f64 v[6:7], v[36:37], v[30:31]
	v_fma_f64 v[20:21], -v[28:29], v[34:35], v[6:7]
	v_mul_f64 v[6:7], v[36:37], -v[28:29]
	v_fma_f64 v[16:17], -v[24:25], v[32:33], v[16:17]
	v_fma_f64 v[22:23], -v[30:31], v[34:35], v[6:7]
	s_barrier
	ds_write_b128 v11, v[12:15]
	ds_write_b128 v1, v[2:5] offset:32768
	ds_write_b128 v1, v[16:19]
	ds_write_b128 v10, v[20:23]
	v_sub_u32_e64 v2, v0, 2 clamp
	v_lshlrev_b32_e32 v42, 4, v2
	s_waitcnt lgkmcnt(0)
	s_barrier
	ds_read_b128 v[2:5], v42 offset:8192
	ds_read_b128 v[12:15], v42 offset:16384
	v_add_u32_e32 v16, 2, v0
	v_min_i32_e32 v28, s0, v16
	v_lshlrev_b32_e32 v40, 4, v28
	s_waitcnt lgkmcnt(1)
	v_mul_f64 v[6:7], v[4:5], v[4:5]
	v_fmac_f64_e32 v[6:7], v[2:3], v[2:3]
	v_div_scale_f64 v[20:21], s[6:7], v[6:7], v[6:7], 1.0
	v_rcp_f64_e32 v[22:23], v[20:21]
	ds_read_b128 v[16:19], v1
	v_fma_f64 v[24:25], -v[20:21], v[22:23], 1.0
	v_fmac_f64_e32 v[22:23], v[22:23], v[24:25]
	v_fma_f64 v[24:25], -v[20:21], v[22:23], 1.0
	v_fmac_f64_e32 v[22:23], v[22:23], v[24:25]
	v_div_scale_f64 v[24:25], vcc, 1.0, v[6:7], 1.0
	v_mul_f64 v[26:27], v[24:25], v[22:23]
	v_fma_f64 v[20:21], -v[20:21], v[26:27], v[24:25]
	s_waitcnt lgkmcnt(0)
	v_mul_f64 v[28:29], v[4:5], v[18:19]
	v_div_fmas_f64 v[20:21], v[20:21], v[22:23], v[26:27]
	v_div_fixup_f64 v[6:7], v[20:21], v[6:7], 1.0
	ds_read_b128 v[20:23], v40 offset:8192
	ds_read_b128 v[24:27], v10
	v_mul_f64 v[4:5], v[4:5], -v[16:17]
	v_fmac_f64_e32 v[28:29], v[16:17], v[2:3]
	v_fmac_f64_e32 v[4:5], v[18:19], v[2:3]
	s_waitcnt lgkmcnt(1)
	v_mul_f64 v[34:35], v[22:23], v[22:23]
	v_fmac_f64_e32 v[34:35], v[20:21], v[20:21]
	v_div_scale_f64 v[36:37], s[6:7], v[34:35], v[34:35], 1.0
	v_rcp_f64_e32 v[38:39], v[36:37]
	v_mul_f64 v[32:33], v[6:7], v[28:29]
	v_mul_f64 v[6:7], v[6:7], v[4:5]
	ds_read_b128 v[28:31], v40 offset:16384
	v_fma_f64 v[2:3], -v[36:37], v[38:39], 1.0
	v_fmac_f64_e32 v[38:39], v[38:39], v[2:3]
	v_fma_f64 v[2:3], -v[36:37], v[38:39], 1.0
	v_fmac_f64_e32 v[38:39], v[38:39], v[2:3]
	v_div_scale_f64 v[2:3], vcc, 1.0, v[34:35], 1.0
	v_mul_f64 v[4:5], v[2:3], v[38:39]
	v_fma_f64 v[2:3], -v[36:37], v[4:5], v[2:3]
	s_nop 1
	v_div_fmas_f64 v[2:3], v[2:3], v[38:39], v[4:5]
	s_waitcnt lgkmcnt(1)
	v_mul_f64 v[4:5], v[22:23], v[26:27]
	v_div_fixup_f64 v[2:3], v[2:3], v[34:35], 1.0
	v_fmac_f64_e32 v[4:5], v[24:25], v[20:21]
	v_mul_f64 v[34:35], v[2:3], v[4:5]
	v_mul_f64 v[4:5], v[22:23], -v[24:25]
	v_fmac_f64_e32 v[4:5], v[26:27], v[20:21]
	v_mul_f64 v[36:37], v[2:3], v[4:5]
	ds_read_b128 v[2:5], v11
	v_mul_f64 v[20:21], v[6:7], -v[14:15]
	v_mul_f64 v[22:23], v[6:7], v[12:13]
	v_fmac_f64_e32 v[20:21], v[12:13], v[32:33]
	v_fmac_f64_e32 v[22:23], v[14:15], v[32:33]
	ds_read_b128 v[12:15], v40
	ds_read_b128 v[16:19], v1 offset:32768
	s_waitcnt lgkmcnt(2)
	v_add_f64 v[24:25], v[2:3], -v[20:21]
	v_add_f64 v[26:27], v[4:5], -v[22:23]
	ds_read_b128 v[2:5], v40 offset:32768
	ds_read_b128 v[20:23], v42 offset:32768
	s_waitcnt lgkmcnt(3)
	v_mul_f64 v[38:39], v[36:37], -v[14:15]
	v_mul_f64 v[40:41], v[36:37], v[12:13]
	v_fmac_f64_e32 v[38:39], v[12:13], v[34:35]
	v_fmac_f64_e32 v[40:41], v[14:15], v[34:35]
	v_add_f64 v[12:13], v[24:25], -v[38:39]
	v_add_f64 v[14:15], v[26:27], -v[40:41]
	ds_read_b128 v[24:27], v42
	s_waitcnt lgkmcnt(1)
	v_mul_f64 v[38:39], v[6:7], -v[22:23]
	v_fmac_f64_e32 v[38:39], v[20:21], v[32:33]
	v_mul_f64 v[20:21], v[6:7], v[20:21]
	v_fmac_f64_e32 v[20:21], v[22:23], v[32:33]
	v_add_f64 v[18:19], v[18:19], -v[20:21]
	v_mul_f64 v[20:21], v[36:37], -v[4:5]
	v_add_f64 v[16:17], v[16:17], -v[38:39]
	v_fmac_f64_e32 v[20:21], v[2:3], v[34:35]
	v_mul_f64 v[22:23], v[36:37], v[2:3]
	v_fmac_f64_e32 v[22:23], v[4:5], v[34:35]
	v_add_f64 v[2:3], v[16:17], -v[20:21]
	s_waitcnt lgkmcnt(0)
	v_mul_f64 v[16:17], v[6:7], v[26:27]
	v_mul_f64 v[6:7], v[6:7], -v[24:25]
	v_add_f64 v[4:5], v[18:19], -v[22:23]
	v_fma_f64 v[18:19], -v[26:27], v[32:33], v[6:7]
	v_mul_f64 v[6:7], v[36:37], v[30:31]
	v_fma_f64 v[20:21], -v[28:29], v[34:35], v[6:7]
	v_mul_f64 v[6:7], v[36:37], -v[28:29]
	v_fma_f64 v[16:17], -v[24:25], v[32:33], v[16:17]
	v_fma_f64 v[22:23], -v[30:31], v[34:35], v[6:7]
	s_barrier
	ds_write_b128 v11, v[12:15]
	ds_write_b128 v1, v[2:5] offset:32768
	ds_write_b128 v1, v[16:19]
	ds_write_b128 v10, v[20:23]
	v_sub_u32_e64 v2, v0, 4 clamp
	v_lshlrev_b32_e32 v42, 4, v2
	s_waitcnt lgkmcnt(0)
	s_barrier
	ds_read_b128 v[2:5], v42 offset:8192
	ds_read_b128 v[12:15], v42 offset:16384
	v_add_u32_e32 v16, 4, v0
	v_min_i32_e32 v28, s0, v16
	v_lshlrev_b32_e32 v40, 4, v28
	s_waitcnt lgkmcnt(1)
	v_mul_f64 v[6:7], v[4:5], v[4:5]
	v_fmac_f64_e32 v[6:7], v[2:3], v[2:3]
	v_div_scale_f64 v[20:21], s[6:7], v[6:7], v[6:7], 1.0
	v_rcp_f64_e32 v[22:23], v[20:21]
	ds_read_b128 v[16:19], v1
	v_fma_f64 v[24:25], -v[20:21], v[22:23], 1.0
	v_fmac_f64_e32 v[22:23], v[22:23], v[24:25]
	v_fma_f64 v[24:25], -v[20:21], v[22:23], 1.0
	v_fmac_f64_e32 v[22:23], v[22:23], v[24:25]
	v_div_scale_f64 v[24:25], vcc, 1.0, v[6:7], 1.0
	v_mul_f64 v[26:27], v[24:25], v[22:23]
	v_fma_f64 v[20:21], -v[20:21], v[26:27], v[24:25]
	s_waitcnt lgkmcnt(0)
	v_mul_f64 v[28:29], v[4:5], v[18:19]
	v_div_fmas_f64 v[20:21], v[20:21], v[22:23], v[26:27]
	v_div_fixup_f64 v[6:7], v[20:21], v[6:7], 1.0
	ds_read_b128 v[20:23], v40 offset:8192
	ds_read_b128 v[24:27], v10
	v_mul_f64 v[4:5], v[4:5], -v[16:17]
	v_fmac_f64_e32 v[28:29], v[16:17], v[2:3]
	v_fmac_f64_e32 v[4:5], v[18:19], v[2:3]
	s_waitcnt lgkmcnt(1)
	v_mul_f64 v[34:35], v[22:23], v[22:23]
	v_fmac_f64_e32 v[34:35], v[20:21], v[20:21]
	v_div_scale_f64 v[36:37], s[6:7], v[34:35], v[34:35], 1.0
	v_rcp_f64_e32 v[38:39], v[36:37]
	v_mul_f64 v[32:33], v[6:7], v[28:29]
	v_mul_f64 v[6:7], v[6:7], v[4:5]
	ds_read_b128 v[28:31], v40 offset:16384
	v_fma_f64 v[2:3], -v[36:37], v[38:39], 1.0
	v_fmac_f64_e32 v[38:39], v[38:39], v[2:3]
	v_fma_f64 v[2:3], -v[36:37], v[38:39], 1.0
	v_fmac_f64_e32 v[38:39], v[38:39], v[2:3]
	v_div_scale_f64 v[2:3], vcc, 1.0, v[34:35], 1.0
	v_mul_f64 v[4:5], v[2:3], v[38:39]
	v_fma_f64 v[2:3], -v[36:37], v[4:5], v[2:3]
	s_nop 1
	v_div_fmas_f64 v[2:3], v[2:3], v[38:39], v[4:5]
	s_waitcnt lgkmcnt(1)
	v_mul_f64 v[4:5], v[22:23], v[26:27]
	v_div_fixup_f64 v[2:3], v[2:3], v[34:35], 1.0
	v_fmac_f64_e32 v[4:5], v[24:25], v[20:21]
	v_mul_f64 v[34:35], v[2:3], v[4:5]
	v_mul_f64 v[4:5], v[22:23], -v[24:25]
	v_fmac_f64_e32 v[4:5], v[26:27], v[20:21]
	v_mul_f64 v[36:37], v[2:3], v[4:5]
	ds_read_b128 v[2:5], v11
	v_mul_f64 v[20:21], v[6:7], -v[14:15]
	v_mul_f64 v[22:23], v[6:7], v[12:13]
	v_fmac_f64_e32 v[20:21], v[12:13], v[32:33]
	v_fmac_f64_e32 v[22:23], v[14:15], v[32:33]
	ds_read_b128 v[12:15], v40
	ds_read_b128 v[16:19], v1 offset:32768
	s_waitcnt lgkmcnt(2)
	v_add_f64 v[24:25], v[2:3], -v[20:21]
	v_add_f64 v[26:27], v[4:5], -v[22:23]
	ds_read_b128 v[2:5], v40 offset:32768
	ds_read_b128 v[20:23], v42 offset:32768
	s_waitcnt lgkmcnt(3)
	v_mul_f64 v[38:39], v[36:37], -v[14:15]
	v_mul_f64 v[40:41], v[36:37], v[12:13]
	v_fmac_f64_e32 v[38:39], v[12:13], v[34:35]
	v_fmac_f64_e32 v[40:41], v[14:15], v[34:35]
	v_add_f64 v[12:13], v[24:25], -v[38:39]
	v_add_f64 v[14:15], v[26:27], -v[40:41]
	ds_read_b128 v[24:27], v42
	s_waitcnt lgkmcnt(1)
	v_mul_f64 v[38:39], v[6:7], -v[22:23]
	v_fmac_f64_e32 v[38:39], v[20:21], v[32:33]
	v_mul_f64 v[20:21], v[6:7], v[20:21]
	v_fmac_f64_e32 v[20:21], v[22:23], v[32:33]
	v_add_f64 v[18:19], v[18:19], -v[20:21]
	v_mul_f64 v[20:21], v[36:37], -v[4:5]
	v_add_f64 v[16:17], v[16:17], -v[38:39]
	v_fmac_f64_e32 v[20:21], v[2:3], v[34:35]
	v_mul_f64 v[22:23], v[36:37], v[2:3]
	v_fmac_f64_e32 v[22:23], v[4:5], v[34:35]
	v_add_f64 v[2:3], v[16:17], -v[20:21]
	s_waitcnt lgkmcnt(0)
	v_mul_f64 v[16:17], v[6:7], v[26:27]
	v_mul_f64 v[6:7], v[6:7], -v[24:25]
	v_add_f64 v[4:5], v[18:19], -v[22:23]
	v_fma_f64 v[18:19], -v[26:27], v[32:33], v[6:7]
	v_mul_f64 v[6:7], v[36:37], v[30:31]
	v_fma_f64 v[20:21], -v[28:29], v[34:35], v[6:7]
	v_mul_f64 v[6:7], v[36:37], -v[28:29]
	v_fma_f64 v[16:17], -v[24:25], v[32:33], v[16:17]
	v_fma_f64 v[22:23], -v[30:31], v[34:35], v[6:7]
	s_barrier
	ds_write_b128 v11, v[12:15]
	ds_write_b128 v1, v[2:5] offset:32768
	ds_write_b128 v1, v[16:19]
	ds_write_b128 v10, v[20:23]
	v_sub_u32_e64 v2, v0, 8 clamp
	v_lshlrev_b32_e32 v42, 4, v2
	s_waitcnt lgkmcnt(0)
	s_barrier
	ds_read_b128 v[2:5], v42 offset:8192
	ds_read_b128 v[12:15], v42 offset:16384
	v_add_u32_e32 v16, 8, v0
	v_min_i32_e32 v28, s0, v16
	v_lshlrev_b32_e32 v40, 4, v28
	s_waitcnt lgkmcnt(1)
	v_mul_f64 v[6:7], v[4:5], v[4:5]
	v_fmac_f64_e32 v[6:7], v[2:3], v[2:3]
	v_div_scale_f64 v[20:21], s[6:7], v[6:7], v[6:7], 1.0
	v_rcp_f64_e32 v[22:23], v[20:21]
	ds_read_b128 v[16:19], v1
	v_fma_f64 v[24:25], -v[20:21], v[22:23], 1.0
	v_fmac_f64_e32 v[22:23], v[22:23], v[24:25]
	v_fma_f64 v[24:25], -v[20:21], v[22:23], 1.0
	v_fmac_f64_e32 v[22:23], v[22:23], v[24:25]
	v_div_scale_f64 v[24:25], vcc, 1.0, v[6:7], 1.0
	v_mul_f64 v[26:27], v[24:25], v[22:23]
	v_fma_f64 v[20:21], -v[20:21], v[26:27], v[24:25]
	s_waitcnt lgkmcnt(0)
	v_mul_f64 v[28:29], v[4:5], v[18:19]
	v_div_fmas_f64 v[20:21], v[20:21], v[22:23], v[26:27]
	v_div_fixup_f64 v[6:7], v[20:21], v[6:7], 1.0
	ds_read_b128 v[20:23], v40 offset:8192
	ds_read_b128 v[24:27], v10
	v_mul_f64 v[4:5], v[4:5], -v[16:17]
	v_fmac_f64_e32 v[28:29], v[16:17], v[2:3]
	v_fmac_f64_e32 v[4:5], v[18:19], v[2:3]
	s_waitcnt lgkmcnt(1)
	v_mul_f64 v[34:35], v[22:23], v[22:23]
	v_fmac_f64_e32 v[34:35], v[20:21], v[20:21]
	v_div_scale_f64 v[36:37], s[6:7], v[34:35], v[34:35], 1.0
	v_rcp_f64_e32 v[38:39], v[36:37]
	v_mul_f64 v[32:33], v[6:7], v[28:29]
	v_mul_f64 v[6:7], v[6:7], v[4:5]
	ds_read_b128 v[28:31], v40 offset:16384
	v_fma_f64 v[2:3], -v[36:37], v[38:39], 1.0
	v_fmac_f64_e32 v[38:39], v[38:39], v[2:3]
	v_fma_f64 v[2:3], -v[36:37], v[38:39], 1.0
	v_fmac_f64_e32 v[38:39], v[38:39], v[2:3]
	v_div_scale_f64 v[2:3], vcc, 1.0, v[34:35], 1.0
	v_mul_f64 v[4:5], v[2:3], v[38:39]
	v_fma_f64 v[2:3], -v[36:37], v[4:5], v[2:3]
	s_nop 1
	v_div_fmas_f64 v[2:3], v[2:3], v[38:39], v[4:5]
	s_waitcnt lgkmcnt(1)
	v_mul_f64 v[4:5], v[22:23], v[26:27]
	v_div_fixup_f64 v[2:3], v[2:3], v[34:35], 1.0
	v_fmac_f64_e32 v[4:5], v[24:25], v[20:21]
	v_mul_f64 v[34:35], v[2:3], v[4:5]
	v_mul_f64 v[4:5], v[22:23], -v[24:25]
	v_fmac_f64_e32 v[4:5], v[26:27], v[20:21]
	v_mul_f64 v[36:37], v[2:3], v[4:5]
	ds_read_b128 v[2:5], v11
	v_mul_f64 v[20:21], v[6:7], -v[14:15]
	v_mul_f64 v[22:23], v[6:7], v[12:13]
	v_fmac_f64_e32 v[20:21], v[12:13], v[32:33]
	v_fmac_f64_e32 v[22:23], v[14:15], v[32:33]
	ds_read_b128 v[12:15], v40
	ds_read_b128 v[16:19], v1 offset:32768
	s_waitcnt lgkmcnt(2)
	v_add_f64 v[24:25], v[2:3], -v[20:21]
	v_add_f64 v[26:27], v[4:5], -v[22:23]
	ds_read_b128 v[2:5], v40 offset:32768
	ds_read_b128 v[20:23], v42 offset:32768
	s_waitcnt lgkmcnt(3)
	v_mul_f64 v[38:39], v[36:37], -v[14:15]
	v_mul_f64 v[40:41], v[36:37], v[12:13]
	v_fmac_f64_e32 v[38:39], v[12:13], v[34:35]
	v_fmac_f64_e32 v[40:41], v[14:15], v[34:35]
	v_add_f64 v[12:13], v[24:25], -v[38:39]
	v_add_f64 v[14:15], v[26:27], -v[40:41]
	ds_read_b128 v[24:27], v42
	s_waitcnt lgkmcnt(1)
	v_mul_f64 v[38:39], v[6:7], -v[22:23]
	v_fmac_f64_e32 v[38:39], v[20:21], v[32:33]
	v_mul_f64 v[20:21], v[6:7], v[20:21]
	v_fmac_f64_e32 v[20:21], v[22:23], v[32:33]
	v_add_f64 v[18:19], v[18:19], -v[20:21]
	v_mul_f64 v[20:21], v[36:37], -v[4:5]
	v_add_f64 v[16:17], v[16:17], -v[38:39]
	v_fmac_f64_e32 v[20:21], v[2:3], v[34:35]
	v_mul_f64 v[22:23], v[36:37], v[2:3]
	v_fmac_f64_e32 v[22:23], v[4:5], v[34:35]
	v_add_f64 v[2:3], v[16:17], -v[20:21]
	s_waitcnt lgkmcnt(0)
	v_mul_f64 v[16:17], v[6:7], v[26:27]
	v_mul_f64 v[6:7], v[6:7], -v[24:25]
	v_add_f64 v[4:5], v[18:19], -v[22:23]
	v_fma_f64 v[18:19], -v[26:27], v[32:33], v[6:7]
	v_mul_f64 v[6:7], v[36:37], v[30:31]
	v_fma_f64 v[20:21], -v[28:29], v[34:35], v[6:7]
	v_mul_f64 v[6:7], v[36:37], -v[28:29]
	v_fma_f64 v[16:17], -v[24:25], v[32:33], v[16:17]
	v_fma_f64 v[22:23], -v[30:31], v[34:35], v[6:7]
	s_barrier
	ds_write_b128 v11, v[12:15]
	ds_write_b128 v1, v[2:5] offset:32768
	ds_write_b128 v1, v[16:19]
	ds_write_b128 v10, v[20:23]
	v_sub_u32_e64 v2, v0, 16 clamp
	v_lshlrev_b32_e32 v42, 4, v2
	s_waitcnt lgkmcnt(0)
	s_barrier
	ds_read_b128 v[2:5], v42 offset:8192
	ds_read_b128 v[12:15], v42 offset:16384
	v_add_u32_e32 v16, 16, v0
	v_min_i32_e32 v28, s0, v16
	v_lshlrev_b32_e32 v40, 4, v28
	s_waitcnt lgkmcnt(1)
	v_mul_f64 v[6:7], v[4:5], v[4:5]
	v_fmac_f64_e32 v[6:7], v[2:3], v[2:3]
	v_div_scale_f64 v[20:21], s[6:7], v[6:7], v[6:7], 1.0
	v_rcp_f64_e32 v[22:23], v[20:21]
	ds_read_b128 v[16:19], v1
	v_fma_f64 v[24:25], -v[20:21], v[22:23], 1.0
	v_fmac_f64_e32 v[22:23], v[22:23], v[24:25]
	v_fma_f64 v[24:25], -v[20:21], v[22:23], 1.0
	v_fmac_f64_e32 v[22:23], v[22:23], v[24:25]
	v_div_scale_f64 v[24:25], vcc, 1.0, v[6:7], 1.0
	v_mul_f64 v[26:27], v[24:25], v[22:23]
	v_fma_f64 v[20:21], -v[20:21], v[26:27], v[24:25]
	s_waitcnt lgkmcnt(0)
	v_mul_f64 v[28:29], v[4:5], v[18:19]
	v_div_fmas_f64 v[20:21], v[20:21], v[22:23], v[26:27]
	v_div_fixup_f64 v[6:7], v[20:21], v[6:7], 1.0
	ds_read_b128 v[20:23], v40 offset:8192
	ds_read_b128 v[24:27], v10
	v_mul_f64 v[4:5], v[4:5], -v[16:17]
	v_fmac_f64_e32 v[28:29], v[16:17], v[2:3]
	v_fmac_f64_e32 v[4:5], v[18:19], v[2:3]
	s_waitcnt lgkmcnt(1)
	v_mul_f64 v[34:35], v[22:23], v[22:23]
	v_fmac_f64_e32 v[34:35], v[20:21], v[20:21]
	v_div_scale_f64 v[36:37], s[6:7], v[34:35], v[34:35], 1.0
	v_rcp_f64_e32 v[38:39], v[36:37]
	v_mul_f64 v[32:33], v[6:7], v[28:29]
	v_mul_f64 v[6:7], v[6:7], v[4:5]
	ds_read_b128 v[28:31], v40 offset:16384
	v_fma_f64 v[2:3], -v[36:37], v[38:39], 1.0
	v_fmac_f64_e32 v[38:39], v[38:39], v[2:3]
	v_fma_f64 v[2:3], -v[36:37], v[38:39], 1.0
	v_fmac_f64_e32 v[38:39], v[38:39], v[2:3]
	v_div_scale_f64 v[2:3], vcc, 1.0, v[34:35], 1.0
	v_mul_f64 v[4:5], v[2:3], v[38:39]
	v_fma_f64 v[2:3], -v[36:37], v[4:5], v[2:3]
	s_nop 1
	v_div_fmas_f64 v[2:3], v[2:3], v[38:39], v[4:5]
	s_waitcnt lgkmcnt(1)
	v_mul_f64 v[4:5], v[22:23], v[26:27]
	v_div_fixup_f64 v[2:3], v[2:3], v[34:35], 1.0
	v_fmac_f64_e32 v[4:5], v[24:25], v[20:21]
	v_mul_f64 v[34:35], v[2:3], v[4:5]
	v_mul_f64 v[4:5], v[22:23], -v[24:25]
	v_fmac_f64_e32 v[4:5], v[26:27], v[20:21]
	v_mul_f64 v[36:37], v[2:3], v[4:5]
	ds_read_b128 v[2:5], v11
	v_mul_f64 v[20:21], v[6:7], -v[14:15]
	v_mul_f64 v[22:23], v[6:7], v[12:13]
	v_fmac_f64_e32 v[20:21], v[12:13], v[32:33]
	v_fmac_f64_e32 v[22:23], v[14:15], v[32:33]
	ds_read_b128 v[12:15], v40
	ds_read_b128 v[16:19], v1 offset:32768
	s_waitcnt lgkmcnt(2)
	v_add_f64 v[24:25], v[2:3], -v[20:21]
	v_add_f64 v[26:27], v[4:5], -v[22:23]
	ds_read_b128 v[2:5], v40 offset:32768
	ds_read_b128 v[20:23], v42 offset:32768
	s_waitcnt lgkmcnt(3)
	v_mul_f64 v[38:39], v[36:37], -v[14:15]
	v_mul_f64 v[40:41], v[36:37], v[12:13]
	v_fmac_f64_e32 v[38:39], v[12:13], v[34:35]
	v_fmac_f64_e32 v[40:41], v[14:15], v[34:35]
	v_add_f64 v[12:13], v[24:25], -v[38:39]
	v_add_f64 v[14:15], v[26:27], -v[40:41]
	ds_read_b128 v[24:27], v42
	s_waitcnt lgkmcnt(1)
	v_mul_f64 v[38:39], v[6:7], -v[22:23]
	v_fmac_f64_e32 v[38:39], v[20:21], v[32:33]
	v_mul_f64 v[20:21], v[6:7], v[20:21]
	v_fmac_f64_e32 v[20:21], v[22:23], v[32:33]
	v_add_f64 v[18:19], v[18:19], -v[20:21]
	v_mul_f64 v[20:21], v[36:37], -v[4:5]
	v_add_f64 v[16:17], v[16:17], -v[38:39]
	v_fmac_f64_e32 v[20:21], v[2:3], v[34:35]
	v_mul_f64 v[22:23], v[36:37], v[2:3]
	v_fmac_f64_e32 v[22:23], v[4:5], v[34:35]
	v_add_f64 v[2:3], v[16:17], -v[20:21]
	s_waitcnt lgkmcnt(0)
	v_mul_f64 v[16:17], v[6:7], v[26:27]
	v_mul_f64 v[6:7], v[6:7], -v[24:25]
	v_add_f64 v[4:5], v[18:19], -v[22:23]
	v_fma_f64 v[18:19], -v[26:27], v[32:33], v[6:7]
	v_mul_f64 v[6:7], v[36:37], v[30:31]
	v_fma_f64 v[20:21], -v[28:29], v[34:35], v[6:7]
	v_mul_f64 v[6:7], v[36:37], -v[28:29]
	v_fma_f64 v[16:17], -v[24:25], v[32:33], v[16:17]
	v_fma_f64 v[22:23], -v[30:31], v[34:35], v[6:7]
	s_barrier
	ds_write_b128 v11, v[12:15]
	ds_write_b128 v1, v[2:5] offset:32768
	ds_write_b128 v1, v[16:19]
	ds_write_b128 v10, v[20:23]
	v_sub_u32_e64 v2, v0, 32 clamp
	v_lshlrev_b32_e32 v42, 4, v2
	s_waitcnt lgkmcnt(0)
	s_barrier
	ds_read_b128 v[2:5], v42 offset:8192
	ds_read_b128 v[12:15], v42 offset:16384
	v_add_u32_e32 v16, 32, v0
	v_min_i32_e32 v28, s0, v16
	v_lshlrev_b32_e32 v40, 4, v28
	s_waitcnt lgkmcnt(1)
	v_mul_f64 v[6:7], v[4:5], v[4:5]
	v_fmac_f64_e32 v[6:7], v[2:3], v[2:3]
	v_div_scale_f64 v[20:21], s[6:7], v[6:7], v[6:7], 1.0
	v_rcp_f64_e32 v[22:23], v[20:21]
	ds_read_b128 v[16:19], v1
	v_fma_f64 v[24:25], -v[20:21], v[22:23], 1.0
	v_fmac_f64_e32 v[22:23], v[22:23], v[24:25]
	v_fma_f64 v[24:25], -v[20:21], v[22:23], 1.0
	v_fmac_f64_e32 v[22:23], v[22:23], v[24:25]
	v_div_scale_f64 v[24:25], vcc, 1.0, v[6:7], 1.0
	v_mul_f64 v[26:27], v[24:25], v[22:23]
	v_fma_f64 v[20:21], -v[20:21], v[26:27], v[24:25]
	s_waitcnt lgkmcnt(0)
	v_mul_f64 v[28:29], v[4:5], v[18:19]
	v_div_fmas_f64 v[20:21], v[20:21], v[22:23], v[26:27]
	v_div_fixup_f64 v[6:7], v[20:21], v[6:7], 1.0
	ds_read_b128 v[20:23], v40 offset:8192
	ds_read_b128 v[24:27], v10
	v_mul_f64 v[4:5], v[4:5], -v[16:17]
	v_fmac_f64_e32 v[28:29], v[16:17], v[2:3]
	v_fmac_f64_e32 v[4:5], v[18:19], v[2:3]
	s_waitcnt lgkmcnt(1)
	v_mul_f64 v[34:35], v[22:23], v[22:23]
	v_fmac_f64_e32 v[34:35], v[20:21], v[20:21]
	v_div_scale_f64 v[36:37], s[6:7], v[34:35], v[34:35], 1.0
	v_rcp_f64_e32 v[38:39], v[36:37]
	v_mul_f64 v[32:33], v[6:7], v[28:29]
	v_mul_f64 v[6:7], v[6:7], v[4:5]
	ds_read_b128 v[28:31], v40 offset:16384
	v_fma_f64 v[2:3], -v[36:37], v[38:39], 1.0
	v_fmac_f64_e32 v[38:39], v[38:39], v[2:3]
	v_fma_f64 v[2:3], -v[36:37], v[38:39], 1.0
	v_fmac_f64_e32 v[38:39], v[38:39], v[2:3]
	v_div_scale_f64 v[2:3], vcc, 1.0, v[34:35], 1.0
	v_mul_f64 v[4:5], v[2:3], v[38:39]
	v_fma_f64 v[2:3], -v[36:37], v[4:5], v[2:3]
	s_nop 1
	v_div_fmas_f64 v[2:3], v[2:3], v[38:39], v[4:5]
	s_waitcnt lgkmcnt(1)
	v_mul_f64 v[4:5], v[22:23], v[26:27]
	v_div_fixup_f64 v[2:3], v[2:3], v[34:35], 1.0
	v_fmac_f64_e32 v[4:5], v[24:25], v[20:21]
	v_mul_f64 v[34:35], v[2:3], v[4:5]
	v_mul_f64 v[4:5], v[22:23], -v[24:25]
	v_fmac_f64_e32 v[4:5], v[26:27], v[20:21]
	v_mul_f64 v[36:37], v[2:3], v[4:5]
	ds_read_b128 v[2:5], v11
	v_mul_f64 v[20:21], v[6:7], -v[14:15]
	v_mul_f64 v[22:23], v[6:7], v[12:13]
	v_fmac_f64_e32 v[20:21], v[12:13], v[32:33]
	v_fmac_f64_e32 v[22:23], v[14:15], v[32:33]
	ds_read_b128 v[12:15], v40
	ds_read_b128 v[16:19], v1 offset:32768
	s_waitcnt lgkmcnt(2)
	v_add_f64 v[24:25], v[2:3], -v[20:21]
	v_add_f64 v[26:27], v[4:5], -v[22:23]
	ds_read_b128 v[2:5], v40 offset:32768
	ds_read_b128 v[20:23], v42 offset:32768
	s_waitcnt lgkmcnt(3)
	v_mul_f64 v[38:39], v[36:37], -v[14:15]
	v_mul_f64 v[40:41], v[36:37], v[12:13]
	v_fmac_f64_e32 v[38:39], v[12:13], v[34:35]
	v_fmac_f64_e32 v[40:41], v[14:15], v[34:35]
	v_add_f64 v[12:13], v[24:25], -v[38:39]
	v_add_f64 v[14:15], v[26:27], -v[40:41]
	ds_read_b128 v[24:27], v42
	s_waitcnt lgkmcnt(1)
	v_mul_f64 v[38:39], v[6:7], -v[22:23]
	v_fmac_f64_e32 v[38:39], v[20:21], v[32:33]
	v_mul_f64 v[20:21], v[6:7], v[20:21]
	v_fmac_f64_e32 v[20:21], v[22:23], v[32:33]
	v_add_f64 v[18:19], v[18:19], -v[20:21]
	v_mul_f64 v[20:21], v[36:37], -v[4:5]
	v_add_f64 v[16:17], v[16:17], -v[38:39]
	v_fmac_f64_e32 v[20:21], v[2:3], v[34:35]
	v_mul_f64 v[22:23], v[36:37], v[2:3]
	v_fmac_f64_e32 v[22:23], v[4:5], v[34:35]
	v_add_f64 v[2:3], v[16:17], -v[20:21]
	s_waitcnt lgkmcnt(0)
	v_mul_f64 v[16:17], v[6:7], v[26:27]
	v_mul_f64 v[6:7], v[6:7], -v[24:25]
	v_add_f64 v[4:5], v[18:19], -v[22:23]
	v_fma_f64 v[18:19], -v[26:27], v[32:33], v[6:7]
	v_mul_f64 v[6:7], v[36:37], v[30:31]
	v_fma_f64 v[20:21], -v[28:29], v[34:35], v[6:7]
	v_mul_f64 v[6:7], v[36:37], -v[28:29]
	v_fma_f64 v[16:17], -v[24:25], v[32:33], v[16:17]
	v_fma_f64 v[22:23], -v[30:31], v[34:35], v[6:7]
	s_barrier
	ds_write_b128 v11, v[12:15]
	ds_write_b128 v1, v[2:5] offset:32768
	ds_write_b128 v1, v[16:19]
	ds_write_b128 v10, v[20:23]
	v_sub_u32_e64 v2, v0, 64 clamp
	v_lshlrev_b32_e32 v42, 4, v2
	s_waitcnt lgkmcnt(0)
	s_barrier
	ds_read_b128 v[2:5], v42 offset:8192
	ds_read_b128 v[12:15], v42 offset:16384
	v_add_u32_e32 v16, 64, v0
	v_min_i32_e32 v28, s0, v16
	v_lshlrev_b32_e32 v40, 4, v28
	s_waitcnt lgkmcnt(1)
	v_mul_f64 v[6:7], v[4:5], v[4:5]
	v_fmac_f64_e32 v[6:7], v[2:3], v[2:3]
	v_div_scale_f64 v[20:21], s[6:7], v[6:7], v[6:7], 1.0
	v_rcp_f64_e32 v[22:23], v[20:21]
	ds_read_b128 v[16:19], v1
	v_fma_f64 v[24:25], -v[20:21], v[22:23], 1.0
	v_fmac_f64_e32 v[22:23], v[22:23], v[24:25]
	v_fma_f64 v[24:25], -v[20:21], v[22:23], 1.0
	v_fmac_f64_e32 v[22:23], v[22:23], v[24:25]
	v_div_scale_f64 v[24:25], vcc, 1.0, v[6:7], 1.0
	v_mul_f64 v[26:27], v[24:25], v[22:23]
	v_fma_f64 v[20:21], -v[20:21], v[26:27], v[24:25]
	s_waitcnt lgkmcnt(0)
	v_mul_f64 v[28:29], v[4:5], v[18:19]
	v_div_fmas_f64 v[20:21], v[20:21], v[22:23], v[26:27]
	v_div_fixup_f64 v[6:7], v[20:21], v[6:7], 1.0
	ds_read_b128 v[20:23], v40 offset:8192
	ds_read_b128 v[24:27], v10
	v_mul_f64 v[4:5], v[4:5], -v[16:17]
	v_fmac_f64_e32 v[28:29], v[16:17], v[2:3]
	v_fmac_f64_e32 v[4:5], v[18:19], v[2:3]
	s_waitcnt lgkmcnt(1)
	v_mul_f64 v[34:35], v[22:23], v[22:23]
	v_fmac_f64_e32 v[34:35], v[20:21], v[20:21]
	v_div_scale_f64 v[36:37], s[6:7], v[34:35], v[34:35], 1.0
	v_rcp_f64_e32 v[38:39], v[36:37]
	v_mul_f64 v[32:33], v[6:7], v[28:29]
	v_mul_f64 v[6:7], v[6:7], v[4:5]
	ds_read_b128 v[28:31], v40 offset:16384
	v_fma_f64 v[2:3], -v[36:37], v[38:39], 1.0
	v_fmac_f64_e32 v[38:39], v[38:39], v[2:3]
	v_fma_f64 v[2:3], -v[36:37], v[38:39], 1.0
	v_fmac_f64_e32 v[38:39], v[38:39], v[2:3]
	v_div_scale_f64 v[2:3], vcc, 1.0, v[34:35], 1.0
	v_mul_f64 v[4:5], v[2:3], v[38:39]
	v_fma_f64 v[2:3], -v[36:37], v[4:5], v[2:3]
	s_nop 1
	v_div_fmas_f64 v[2:3], v[2:3], v[38:39], v[4:5]
	s_waitcnt lgkmcnt(1)
	v_mul_f64 v[4:5], v[22:23], v[26:27]
	v_div_fixup_f64 v[2:3], v[2:3], v[34:35], 1.0
	v_fmac_f64_e32 v[4:5], v[24:25], v[20:21]
	v_mul_f64 v[34:35], v[2:3], v[4:5]
	v_mul_f64 v[4:5], v[22:23], -v[24:25]
	v_fmac_f64_e32 v[4:5], v[26:27], v[20:21]
	v_mul_f64 v[36:37], v[2:3], v[4:5]
	ds_read_b128 v[2:5], v11
	v_mul_f64 v[20:21], v[6:7], -v[14:15]
	v_mul_f64 v[22:23], v[6:7], v[12:13]
	v_fmac_f64_e32 v[20:21], v[12:13], v[32:33]
	v_fmac_f64_e32 v[22:23], v[14:15], v[32:33]
	ds_read_b128 v[12:15], v40
	ds_read_b128 v[16:19], v1 offset:32768
	s_waitcnt lgkmcnt(2)
	v_add_f64 v[24:25], v[2:3], -v[20:21]
	v_add_f64 v[26:27], v[4:5], -v[22:23]
	ds_read_b128 v[2:5], v40 offset:32768
	ds_read_b128 v[20:23], v42 offset:32768
	s_waitcnt lgkmcnt(3)
	v_mul_f64 v[38:39], v[36:37], -v[14:15]
	v_mul_f64 v[40:41], v[36:37], v[12:13]
	v_fmac_f64_e32 v[38:39], v[12:13], v[34:35]
	v_fmac_f64_e32 v[40:41], v[14:15], v[34:35]
	v_add_f64 v[12:13], v[24:25], -v[38:39]
	v_add_f64 v[14:15], v[26:27], -v[40:41]
	ds_read_b128 v[24:27], v42
	s_waitcnt lgkmcnt(1)
	v_mul_f64 v[38:39], v[6:7], -v[22:23]
	v_fmac_f64_e32 v[38:39], v[20:21], v[32:33]
	v_mul_f64 v[20:21], v[6:7], v[20:21]
	v_fmac_f64_e32 v[20:21], v[22:23], v[32:33]
	v_add_f64 v[18:19], v[18:19], -v[20:21]
	v_mul_f64 v[20:21], v[36:37], -v[4:5]
	v_add_f64 v[16:17], v[16:17], -v[38:39]
	v_fmac_f64_e32 v[20:21], v[2:3], v[34:35]
	v_mul_f64 v[22:23], v[36:37], v[2:3]
	v_fmac_f64_e32 v[22:23], v[4:5], v[34:35]
	v_add_f64 v[2:3], v[16:17], -v[20:21]
	s_waitcnt lgkmcnt(0)
	v_mul_f64 v[16:17], v[6:7], v[26:27]
	v_mul_f64 v[6:7], v[6:7], -v[24:25]
	v_add_f64 v[4:5], v[18:19], -v[22:23]
	v_fma_f64 v[18:19], -v[26:27], v[32:33], v[6:7]
	v_mul_f64 v[6:7], v[36:37], v[30:31]
	v_fma_f64 v[20:21], -v[28:29], v[34:35], v[6:7]
	v_mul_f64 v[6:7], v[36:37], -v[28:29]
	v_fma_f64 v[16:17], -v[24:25], v[32:33], v[16:17]
	v_fma_f64 v[22:23], -v[30:31], v[34:35], v[6:7]
	s_barrier
	ds_write_b128 v11, v[12:15]
	ds_write_b128 v1, v[2:5] offset:32768
	ds_write_b128 v1, v[16:19]
	ds_write_b128 v10, v[20:23]
	v_sub_u32_e64 v2, v0, s1 clamp
	v_lshlrev_b32_e32 v42, 4, v2
	s_waitcnt lgkmcnt(0)
	s_barrier
	ds_read_b128 v[2:5], v42 offset:8192
	ds_read_b128 v[12:15], v42 offset:16384
	v_add_u32_e32 v16, 0x80, v0
	v_min_i32_e32 v28, s0, v16
	v_lshlrev_b32_e32 v40, 4, v28
	s_waitcnt lgkmcnt(1)
	v_mul_f64 v[6:7], v[4:5], v[4:5]
	v_fmac_f64_e32 v[6:7], v[2:3], v[2:3]
	v_div_scale_f64 v[20:21], s[6:7], v[6:7], v[6:7], 1.0
	v_rcp_f64_e32 v[22:23], v[20:21]
	ds_read_b128 v[16:19], v1
	v_fma_f64 v[24:25], -v[20:21], v[22:23], 1.0
	v_fmac_f64_e32 v[22:23], v[22:23], v[24:25]
	v_fma_f64 v[24:25], -v[20:21], v[22:23], 1.0
	v_fmac_f64_e32 v[22:23], v[22:23], v[24:25]
	v_div_scale_f64 v[24:25], vcc, 1.0, v[6:7], 1.0
	v_mul_f64 v[26:27], v[24:25], v[22:23]
	v_fma_f64 v[20:21], -v[20:21], v[26:27], v[24:25]
	s_waitcnt lgkmcnt(0)
	v_mul_f64 v[28:29], v[4:5], v[18:19]
	v_div_fmas_f64 v[20:21], v[20:21], v[22:23], v[26:27]
	v_div_fixup_f64 v[6:7], v[20:21], v[6:7], 1.0
	ds_read_b128 v[20:23], v40 offset:8192
	ds_read_b128 v[24:27], v10
	v_mul_f64 v[4:5], v[4:5], -v[16:17]
	v_fmac_f64_e32 v[28:29], v[16:17], v[2:3]
	v_fmac_f64_e32 v[4:5], v[18:19], v[2:3]
	s_waitcnt lgkmcnt(1)
	v_mul_f64 v[34:35], v[22:23], v[22:23]
	v_fmac_f64_e32 v[34:35], v[20:21], v[20:21]
	v_div_scale_f64 v[36:37], s[0:1], v[34:35], v[34:35], 1.0
	v_rcp_f64_e32 v[38:39], v[36:37]
	v_mul_f64 v[32:33], v[6:7], v[28:29]
	v_mul_f64 v[6:7], v[6:7], v[4:5]
	ds_read_b128 v[28:31], v40 offset:16384
	v_fma_f64 v[2:3], -v[36:37], v[38:39], 1.0
	v_fmac_f64_e32 v[38:39], v[38:39], v[2:3]
	v_fma_f64 v[2:3], -v[36:37], v[38:39], 1.0
	v_fmac_f64_e32 v[38:39], v[38:39], v[2:3]
	v_div_scale_f64 v[2:3], vcc, 1.0, v[34:35], 1.0
	v_mul_f64 v[4:5], v[2:3], v[38:39]
	v_fma_f64 v[2:3], -v[36:37], v[4:5], v[2:3]
	s_movk_i32 s0, 0x100
	s_nop 0
	v_div_fmas_f64 v[2:3], v[2:3], v[38:39], v[4:5]
	s_waitcnt lgkmcnt(1)
	v_mul_f64 v[4:5], v[22:23], v[26:27]
	v_div_fixup_f64 v[2:3], v[2:3], v[34:35], 1.0
	v_fmac_f64_e32 v[4:5], v[24:25], v[20:21]
	v_mul_f64 v[34:35], v[2:3], v[4:5]
	v_mul_f64 v[4:5], v[22:23], -v[24:25]
	v_fmac_f64_e32 v[4:5], v[26:27], v[20:21]
	v_mul_f64 v[36:37], v[2:3], v[4:5]
	ds_read_b128 v[2:5], v11
	v_mul_f64 v[20:21], v[6:7], -v[14:15]
	v_mul_f64 v[22:23], v[6:7], v[12:13]
	v_fmac_f64_e32 v[20:21], v[12:13], v[32:33]
	v_fmac_f64_e32 v[22:23], v[14:15], v[32:33]
	ds_read_b128 v[12:15], v40
	ds_read_b128 v[16:19], v1 offset:32768
	s_waitcnt lgkmcnt(2)
	v_add_f64 v[24:25], v[2:3], -v[20:21]
	v_add_f64 v[26:27], v[4:5], -v[22:23]
	ds_read_b128 v[2:5], v40 offset:32768
	ds_read_b128 v[20:23], v42 offset:32768
	s_waitcnt lgkmcnt(3)
	v_mul_f64 v[38:39], v[36:37], -v[14:15]
	v_mul_f64 v[40:41], v[36:37], v[12:13]
	v_fmac_f64_e32 v[38:39], v[12:13], v[34:35]
	v_fmac_f64_e32 v[40:41], v[14:15], v[34:35]
	v_add_f64 v[12:13], v[24:25], -v[38:39]
	v_add_f64 v[14:15], v[26:27], -v[40:41]
	ds_read_b128 v[24:27], v42
	s_waitcnt lgkmcnt(1)
	v_mul_f64 v[38:39], v[6:7], -v[22:23]
	v_fmac_f64_e32 v[38:39], v[20:21], v[32:33]
	v_mul_f64 v[20:21], v[6:7], v[20:21]
	v_fmac_f64_e32 v[20:21], v[22:23], v[32:33]
	v_add_f64 v[18:19], v[18:19], -v[20:21]
	v_mul_f64 v[20:21], v[36:37], -v[4:5]
	v_add_f64 v[16:17], v[16:17], -v[38:39]
	v_fmac_f64_e32 v[20:21], v[2:3], v[34:35]
	v_mul_f64 v[22:23], v[36:37], v[2:3]
	v_fmac_f64_e32 v[22:23], v[4:5], v[34:35]
	v_add_f64 v[2:3], v[16:17], -v[20:21]
	s_waitcnt lgkmcnt(0)
	v_mul_f64 v[16:17], v[6:7], v[26:27]
	v_mul_f64 v[6:7], v[6:7], -v[24:25]
	v_add_f64 v[4:5], v[18:19], -v[22:23]
	v_fma_f64 v[18:19], -v[26:27], v[32:33], v[6:7]
	v_mul_f64 v[6:7], v[36:37], v[30:31]
	v_fma_f64 v[20:21], -v[28:29], v[34:35], v[6:7]
	v_mul_f64 v[6:7], v[36:37], -v[28:29]
	v_cmp_gt_u32_e32 vcc, s0, v0
	v_fma_f64 v[16:17], -v[24:25], v[32:33], v[16:17]
	v_fma_f64 v[22:23], -v[30:31], v[34:35], v[6:7]
	s_barrier
	ds_write_b128 v11, v[12:15]
	ds_write_b128 v1, v[2:5] offset:32768
	ds_write_b128 v1, v[16:19]
	ds_write_b128 v10, v[20:23]
	s_waitcnt lgkmcnt(0)
	s_barrier
	s_and_saveexec_b64 s[0:1], vcc
	s_cbranch_execz .LBB79_14
; %bb.9:
	v_or_b32_e32 v6, 0x100, v0
	v_or_b32_e32 v7, 0x8000, v1
	v_cmp_le_i32_e32 vcc, s8, v6
                                        ; implicit-def: $vgpr4_vgpr5
	s_and_saveexec_b64 s[6:7], vcc
	s_xor_b64 s[6:7], exec, s[6:7]
	s_cbranch_execz .LBB79_11
; %bb.10:
	ds_read_b128 v[10:13], v11
	ds_read_b128 v[4:7], v7
                                        ; implicit-def: $vgpr1
	s_waitcnt lgkmcnt(1)
	v_mul_f64 v[2:3], v[12:13], v[12:13]
	v_fmac_f64_e32 v[2:3], v[10:11], v[10:11]
	v_div_scale_f64 v[16:17], s[8:9], v[2:3], v[2:3], 1.0
	v_rcp_f64_e32 v[18:19], v[16:17]
	v_div_scale_f64 v[20:21], vcc, 1.0, v[2:3], 1.0
	s_waitcnt lgkmcnt(0)
	v_mul_f64 v[14:15], v[12:13], v[6:7]
	v_fma_f64 v[22:23], -v[16:17], v[18:19], 1.0
	v_fmac_f64_e32 v[18:19], v[18:19], v[22:23]
	v_fma_f64 v[22:23], -v[16:17], v[18:19], 1.0
	v_fmac_f64_e32 v[18:19], v[18:19], v[22:23]
	v_mul_f64 v[22:23], v[20:21], v[18:19]
	v_fma_f64 v[16:17], -v[16:17], v[22:23], v[20:21]
	v_fmac_f64_e32 v[14:15], v[4:5], v[10:11]
	v_div_fmas_f64 v[16:17], v[16:17], v[18:19], v[22:23]
	v_mul_f64 v[4:5], v[12:13], -v[4:5]
	v_div_fixup_f64 v[16:17], v[16:17], v[2:3], 1.0
	v_fmac_f64_e32 v[4:5], v[6:7], v[10:11]
	v_mul_f64 v[2:3], v[16:17], v[14:15]
	v_mul_f64 v[4:5], v[16:17], v[4:5]
                                        ; implicit-def: $vgpr11
                                        ; implicit-def: $vgpr10
                                        ; implicit-def: $vgpr7
                                        ; implicit-def: $vgpr6
.LBB79_11:
	s_or_saveexec_b64 s[6:7], s[6:7]
	v_mov_b32_e32 v12, v0
	s_xor_b64 exec, exec, s[6:7]
	s_cbranch_execz .LBB79_13
; %bb.12:
	ds_read_b128 v[2:5], v11
	ds_read_b128 v[12:15], v11 offset:4096
	ds_read_b128 v[16:19], v1 offset:4096
	ds_read_b128 v[20:23], v10
	s_waitcnt lgkmcnt(2)
	v_mul_f64 v[24:25], v[4:5], v[12:13]
	v_mul_f64 v[10:11], v[4:5], -v[14:15]
	s_waitcnt lgkmcnt(0)
	v_mul_f64 v[28:29], v[18:19], v[20:21]
	v_fmac_f64_e32 v[24:25], v[14:15], v[2:3]
	v_mul_f64 v[26:27], v[18:19], -v[22:23]
	v_fmac_f64_e32 v[28:29], v[22:23], v[16:17]
	v_fmac_f64_e32 v[10:11], v[12:13], v[2:3]
	;; [unrolled: 1-line block ×3, first 2 shown]
	v_add_f64 v[28:29], v[24:25], -v[28:29]
	v_add_f64 v[10:11], v[10:11], -v[26:27]
	v_mul_f64 v[24:25], v[28:29], v[28:29]
	v_fmac_f64_e32 v[24:25], v[10:11], v[10:11]
	v_div_scale_f64 v[26:27], s[8:9], v[24:25], v[24:25], 1.0
	v_rcp_f64_e32 v[30:31], v[26:27]
	s_nop 0
	v_fma_f64 v[32:33], -v[26:27], v[30:31], 1.0
	v_fmac_f64_e32 v[30:31], v[30:31], v[32:33]
	v_fma_f64 v[32:33], -v[26:27], v[30:31], 1.0
	v_fmac_f64_e32 v[30:31], v[30:31], v[32:33]
	v_div_scale_f64 v[32:33], vcc, 1.0, v[24:25], 1.0
	v_mul_f64 v[34:35], v[32:33], v[30:31]
	v_fma_f64 v[26:27], -v[26:27], v[34:35], v[32:33]
	v_fma_f64 v[32:33], 0, v[28:29], v[10:11]
	s_nop 0
	v_div_fmas_f64 v[26:27], v[26:27], v[30:31], v[34:35]
	v_div_fixup_f64 v[30:31], v[26:27], v[24:25], 1.0
	ds_read_b128 v[24:27], v7
	v_fma_f64 v[10:11], v[10:11], 0, -v[28:29]
	v_mul_f64 v[32:33], v[32:33], v[30:31]
	v_mul_f64 v[34:35], v[10:11], v[30:31]
	ds_read_b128 v[28:31], v7 offset:4096
	s_waitcnt lgkmcnt(1)
	v_mul_f64 v[10:11], v[26:27], -v[14:15]
	v_fmac_f64_e32 v[10:11], v[12:13], v[24:25]
	v_mul_f64 v[12:13], v[12:13], v[26:27]
	v_fmac_f64_e32 v[12:13], v[14:15], v[24:25]
	s_waitcnt lgkmcnt(0)
	v_mul_f64 v[14:15], v[30:31], -v[22:23]
	v_fmac_f64_e32 v[14:15], v[20:21], v[28:29]
	v_mul_f64 v[20:21], v[20:21], v[30:31]
	v_fmac_f64_e32 v[20:21], v[22:23], v[28:29]
	v_add_f64 v[14:15], v[10:11], -v[14:15]
	v_add_f64 v[20:21], v[12:13], -v[20:21]
	v_mul_f64 v[10:11], v[34:35], -v[20:21]
	v_mul_f64 v[12:13], v[34:35], v[14:15]
	v_fmac_f64_e32 v[10:11], v[14:15], v[32:33]
	v_fmac_f64_e32 v[12:13], v[20:21], v[32:33]
	ds_write_b128 v1, v[10:13] offset:24576
	v_mul_f64 v[10:11], v[4:5], -v[30:31]
	v_mul_f64 v[4:5], v[4:5], v[28:29]
	v_fmac_f64_e32 v[10:11], v[28:29], v[2:3]
	v_fmac_f64_e32 v[4:5], v[30:31], v[2:3]
	v_mul_f64 v[2:3], v[18:19], -v[26:27]
	v_mul_f64 v[12:13], v[18:19], v[24:25]
	v_fmac_f64_e32 v[2:3], v[24:25], v[16:17]
	v_fmac_f64_e32 v[12:13], v[26:27], v[16:17]
	v_add_f64 v[10:11], v[10:11], -v[2:3]
	v_add_f64 v[12:13], v[4:5], -v[12:13]
	v_mul_f64 v[2:3], v[34:35], -v[12:13]
	v_mul_f64 v[4:5], v[34:35], v[10:11]
	v_fmac_f64_e32 v[2:3], v[10:11], v[32:33]
	v_fmac_f64_e32 v[4:5], v[12:13], v[32:33]
	v_mov_b32_e32 v12, v6
.LBB79_13:
	s_or_b64 exec, exec, s[6:7]
	v_lshlrev_b32_e32 v1, 4, v12
	ds_write_b128 v1, v[2:5] offset:24576
.LBB79_14:
	s_or_b64 exec, exec, s[0:1]
	s_waitcnt lgkmcnt(0)
	s_barrier
	s_and_saveexec_b64 s[0:1], s[2:3]
	s_cbranch_execz .LBB79_16
; %bb.15:
	v_mov_b32_e32 v1, 0x6000
	v_lshl_or_b32 v0, v0, 4, v1
	ds_read2_b64 v[0:3], v0 offset1:1
	v_lshl_add_u64 v[4:5], v[8:9], 4, s[4:5]
	s_waitcnt lgkmcnt(0)
	global_store_dwordx4 v[4:5], v[0:3], off
.LBB79_16:
	s_endpgm
	.section	.rodata,"a",@progbits
	.p2align	6, 0x0
	.amdhsa_kernel _ZN9rocsparseL44gtsv_nopivot_strided_batch_pcr_shared_kernelILj512E21rocsparse_complex_numIdEEEviiiPKT0_S5_S5_PS3_
		.amdhsa_group_segment_fixed_size 40960
		.amdhsa_private_segment_fixed_size 0
		.amdhsa_kernarg_size 48
		.amdhsa_user_sgpr_count 2
		.amdhsa_user_sgpr_dispatch_ptr 0
		.amdhsa_user_sgpr_queue_ptr 0
		.amdhsa_user_sgpr_kernarg_segment_ptr 1
		.amdhsa_user_sgpr_dispatch_id 0
		.amdhsa_user_sgpr_kernarg_preload_length 0
		.amdhsa_user_sgpr_kernarg_preload_offset 0
		.amdhsa_user_sgpr_private_segment_size 0
		.amdhsa_uses_dynamic_stack 0
		.amdhsa_enable_private_segment 0
		.amdhsa_system_sgpr_workgroup_id_x 1
		.amdhsa_system_sgpr_workgroup_id_y 0
		.amdhsa_system_sgpr_workgroup_id_z 0
		.amdhsa_system_sgpr_workgroup_info 0
		.amdhsa_system_vgpr_workitem_id 0
		.amdhsa_next_free_vgpr 43
		.amdhsa_next_free_sgpr 10
		.amdhsa_accum_offset 44
		.amdhsa_reserve_vcc 1
		.amdhsa_float_round_mode_32 0
		.amdhsa_float_round_mode_16_64 0
		.amdhsa_float_denorm_mode_32 3
		.amdhsa_float_denorm_mode_16_64 3
		.amdhsa_dx10_clamp 1
		.amdhsa_ieee_mode 1
		.amdhsa_fp16_overflow 0
		.amdhsa_tg_split 0
		.amdhsa_exception_fp_ieee_invalid_op 0
		.amdhsa_exception_fp_denorm_src 0
		.amdhsa_exception_fp_ieee_div_zero 0
		.amdhsa_exception_fp_ieee_overflow 0
		.amdhsa_exception_fp_ieee_underflow 0
		.amdhsa_exception_fp_ieee_inexact 0
		.amdhsa_exception_int_div_zero 0
	.end_amdhsa_kernel
	.section	.text._ZN9rocsparseL44gtsv_nopivot_strided_batch_pcr_shared_kernelILj512E21rocsparse_complex_numIdEEEviiiPKT0_S5_S5_PS3_,"axG",@progbits,_ZN9rocsparseL44gtsv_nopivot_strided_batch_pcr_shared_kernelILj512E21rocsparse_complex_numIdEEEviiiPKT0_S5_S5_PS3_,comdat
.Lfunc_end79:
	.size	_ZN9rocsparseL44gtsv_nopivot_strided_batch_pcr_shared_kernelILj512E21rocsparse_complex_numIdEEEviiiPKT0_S5_S5_PS3_, .Lfunc_end79-_ZN9rocsparseL44gtsv_nopivot_strided_batch_pcr_shared_kernelILj512E21rocsparse_complex_numIdEEEviiiPKT0_S5_S5_PS3_
                                        ; -- End function
	.set _ZN9rocsparseL44gtsv_nopivot_strided_batch_pcr_shared_kernelILj512E21rocsparse_complex_numIdEEEviiiPKT0_S5_S5_PS3_.num_vgpr, 43
	.set _ZN9rocsparseL44gtsv_nopivot_strided_batch_pcr_shared_kernelILj512E21rocsparse_complex_numIdEEEviiiPKT0_S5_S5_PS3_.num_agpr, 0
	.set _ZN9rocsparseL44gtsv_nopivot_strided_batch_pcr_shared_kernelILj512E21rocsparse_complex_numIdEEEviiiPKT0_S5_S5_PS3_.numbered_sgpr, 10
	.set _ZN9rocsparseL44gtsv_nopivot_strided_batch_pcr_shared_kernelILj512E21rocsparse_complex_numIdEEEviiiPKT0_S5_S5_PS3_.num_named_barrier, 0
	.set _ZN9rocsparseL44gtsv_nopivot_strided_batch_pcr_shared_kernelILj512E21rocsparse_complex_numIdEEEviiiPKT0_S5_S5_PS3_.private_seg_size, 0
	.set _ZN9rocsparseL44gtsv_nopivot_strided_batch_pcr_shared_kernelILj512E21rocsparse_complex_numIdEEEviiiPKT0_S5_S5_PS3_.uses_vcc, 1
	.set _ZN9rocsparseL44gtsv_nopivot_strided_batch_pcr_shared_kernelILj512E21rocsparse_complex_numIdEEEviiiPKT0_S5_S5_PS3_.uses_flat_scratch, 0
	.set _ZN9rocsparseL44gtsv_nopivot_strided_batch_pcr_shared_kernelILj512E21rocsparse_complex_numIdEEEviiiPKT0_S5_S5_PS3_.has_dyn_sized_stack, 0
	.set _ZN9rocsparseL44gtsv_nopivot_strided_batch_pcr_shared_kernelILj512E21rocsparse_complex_numIdEEEviiiPKT0_S5_S5_PS3_.has_recursion, 0
	.set _ZN9rocsparseL44gtsv_nopivot_strided_batch_pcr_shared_kernelILj512E21rocsparse_complex_numIdEEEviiiPKT0_S5_S5_PS3_.has_indirect_call, 0
	.section	.AMDGPU.csdata,"",@progbits
; Kernel info:
; codeLenInByte = 6508
; TotalNumSgprs: 16
; NumVgprs: 43
; NumAgprs: 0
; TotalNumVgprs: 43
; ScratchSize: 0
; MemoryBound: 1
; FloatMode: 240
; IeeeMode: 1
; LDSByteSize: 40960 bytes/workgroup (compile time only)
; SGPRBlocks: 1
; VGPRBlocks: 5
; NumSGPRsForWavesPerEU: 16
; NumVGPRsForWavesPerEU: 43
; AccumOffset: 44
; Occupancy: 8
; WaveLimiterHint : 0
; COMPUTE_PGM_RSRC2:SCRATCH_EN: 0
; COMPUTE_PGM_RSRC2:USER_SGPR: 2
; COMPUTE_PGM_RSRC2:TRAP_HANDLER: 0
; COMPUTE_PGM_RSRC2:TGID_X_EN: 1
; COMPUTE_PGM_RSRC2:TGID_Y_EN: 0
; COMPUTE_PGM_RSRC2:TGID_Z_EN: 0
; COMPUTE_PGM_RSRC2:TIDIG_COMP_CNT: 0
; COMPUTE_PGM_RSRC3_GFX90A:ACCUM_OFFSET: 10
; COMPUTE_PGM_RSRC3_GFX90A:TG_SPLIT: 0
	.section	.text._ZN9rocsparseL49gtsv_nopivot_strided_batch_pcr_pow2_stage1_kernelILj256E21rocsparse_complex_numIdEEEviiiiPKT0_S5_S5_S5_PS3_S6_S6_S6_,"axG",@progbits,_ZN9rocsparseL49gtsv_nopivot_strided_batch_pcr_pow2_stage1_kernelILj256E21rocsparse_complex_numIdEEEviiiiPKT0_S5_S5_S5_PS3_S6_S6_S6_,comdat
	.globl	_ZN9rocsparseL49gtsv_nopivot_strided_batch_pcr_pow2_stage1_kernelILj256E21rocsparse_complex_numIdEEEviiiiPKT0_S5_S5_S5_PS3_S6_S6_S6_ ; -- Begin function _ZN9rocsparseL49gtsv_nopivot_strided_batch_pcr_pow2_stage1_kernelILj256E21rocsparse_complex_numIdEEEviiiiPKT0_S5_S5_S5_PS3_S6_S6_S6_
	.p2align	8
	.type	_ZN9rocsparseL49gtsv_nopivot_strided_batch_pcr_pow2_stage1_kernelILj256E21rocsparse_complex_numIdEEEviiiiPKT0_S5_S5_S5_PS3_S6_S6_S6_,@function
_ZN9rocsparseL49gtsv_nopivot_strided_batch_pcr_pow2_stage1_kernelILj256E21rocsparse_complex_numIdEEEviiiiPKT0_S5_S5_S5_PS3_S6_S6_S6_: ; @_ZN9rocsparseL49gtsv_nopivot_strided_batch_pcr_pow2_stage1_kernelILj256E21rocsparse_complex_numIdEEEviiiiPKT0_S5_S5_S5_PS3_S6_S6_S6_
; %bb.0:
	s_load_dwordx2 s[20:21], s[0:1], 0x0
	s_load_dwordx8 s[12:19], s[0:1], 0x30
	s_load_dword s24, s[0:1], 0xc
	s_load_dwordx8 s[4:11], s[0:1], 0x10
	v_lshl_or_b32 v0, s2, 8, v0
	s_waitcnt lgkmcnt(0)
	v_add_u32_e32 v1, s20, v0
	s_add_i32 s0, s21, -1
	v_min_i32_e32 v6, s0, v1
	s_mul_i32 s0, s21, s3
	s_ashr_i32 s1, s0, 31
	s_lshl_b64 s[22:23], s[0:1], 4
	s_add_u32 s18, s18, s22
	s_mul_i32 s0, s24, s3
	s_addc_u32 s19, s19, s23
	s_ashr_i32 s1, s0, 31
	s_lshl_b64 s[24:25], s[0:1], 4
	s_add_u32 s10, s10, s24
	s_addc_u32 s11, s11, s25
	s_add_u32 s2, s16, s22
	s_addc_u32 s3, s17, s23
	s_add_u32 s0, s8, s24
	s_addc_u32 s1, s9, s25
	s_add_u32 s8, s14, s22
	s_addc_u32 s9, s15, s23
	s_add_u32 s14, s6, s24
	s_addc_u32 s15, s7, s25
	v_subrev_u32_e32 v1, s20, v0
	v_max_i32_e32 v2, 0, v1
	v_mov_b32_e32 v3, 0
	s_add_u32 s6, s12, s22
	v_ashrrev_i32_e32 v1, 31, v0
	v_lshlrev_b64 v[42:43], 4, v[2:3]
	v_ashrrev_i32_e32 v7, 31, v6
	s_addc_u32 s7, s13, s23
	v_lshlrev_b64 v[0:1], 4, v[0:1]
	v_lshl_add_u64 v[2:3], s[14:15], 0, v[42:43]
	v_lshlrev_b64 v[46:47], 4, v[6:7]
	s_add_u32 s4, s4, s24
	global_load_dwordx4 v[2:5], v[2:3], off
	v_lshl_add_u64 v[14:15], s[0:1], 0, v[0:1]
	v_lshl_add_u64 v[16:17], s[14:15], 0, v[46:47]
	s_addc_u32 s5, s5, s25
	global_load_dwordx4 v[6:9], v[16:17], off
	global_load_dwordx4 v[10:13], v[14:15], off
	v_lshl_add_u64 v[14:15], s[4:5], 0, v[0:1]
	global_load_dwordx4 v[14:17], v[14:15], off
	v_lshl_add_u64 v[18:19], s[0:1], 0, v[42:43]
	;; [unrolled: 2-line block ×6, first 2 shown]
	v_lshl_add_u64 v[34:35], s[10:11], 0, v[0:1]
	global_load_dwordx4 v[38:41], v[38:39], off
	v_lshl_add_u64 v[42:43], s[4:5], 0, v[42:43]
	global_load_dwordx4 v[34:37], v[34:35], off
	;; [unrolled: 2-line block ×3, first 2 shown]
	s_waitcnt vmcnt(10)
	v_mul_f64 v[50:51], v[4:5], v[4:5]
	global_load_dwordx4 v[46:49], v[46:47], off
	v_fmac_f64_e32 v[50:51], v[2:3], v[2:3]
	s_waitcnt vmcnt(10)
	v_mul_f64 v[52:53], v[8:9], v[8:9]
	s_waitcnt vmcnt(9)
	v_mul_f64 v[54:55], v[8:9], v[12:13]
	v_mul_f64 v[8:9], v[8:9], -v[10:11]
	v_fmac_f64_e32 v[52:53], v[6:7], v[6:7]
	v_fmac_f64_e32 v[54:55], v[10:11], v[6:7]
	v_fmac_f64_e32 v[8:9], v[12:13], v[6:7]
	v_div_scale_f64 v[6:7], s[0:1], v[50:51], v[50:51], 1.0
	s_waitcnt vmcnt(8)
	v_mul_f64 v[56:57], v[4:5], v[16:17]
	v_mul_f64 v[4:5], v[4:5], -v[14:15]
	v_div_scale_f64 v[12:13], s[0:1], v[52:53], v[52:53], 1.0
	v_fmac_f64_e32 v[56:57], v[14:15], v[2:3]
	v_fmac_f64_e32 v[4:5], v[16:17], v[2:3]
	v_rcp_f64_e32 v[2:3], v[6:7]
	v_rcp_f64_e32 v[14:15], v[12:13]
	v_div_scale_f64 v[10:11], vcc, 1.0, v[50:51], 1.0
	v_fma_f64 v[58:59], -v[6:7], v[2:3], 1.0
	v_fmac_f64_e32 v[2:3], v[2:3], v[58:59]
	v_fma_f64 v[58:59], -v[12:13], v[14:15], 1.0
	v_fmac_f64_e32 v[14:15], v[14:15], v[58:59]
	;; [unrolled: 2-line block ×3, first 2 shown]
	v_fma_f64 v[58:59], -v[12:13], v[14:15], 1.0
	v_div_scale_f64 v[16:17], s[0:1], 1.0, v[52:53], 1.0
	v_fmac_f64_e32 v[14:15], v[14:15], v[58:59]
	v_mul_f64 v[58:59], v[10:11], v[2:3]
	v_fma_f64 v[6:7], -v[6:7], v[58:59], v[10:11]
	v_mul_f64 v[10:11], v[16:17], v[14:15]
	v_fma_f64 v[12:13], -v[12:13], v[10:11], v[16:17]
	v_div_fmas_f64 v[2:3], v[6:7], v[2:3], v[58:59]
	s_mov_b64 vcc, s[0:1]
	v_div_fixup_f64 v[2:3], v[2:3], v[50:51], 1.0
	v_div_fmas_f64 v[6:7], v[12:13], v[14:15], v[10:11]
	v_mul_f64 v[10:11], v[2:3], v[56:57]
	v_mul_f64 v[12:13], v[2:3], v[4:5]
	v_div_fixup_f64 v[2:3], v[6:7], v[52:53], 1.0
	v_mul_f64 v[6:7], v[2:3], v[54:55]
	v_mul_f64 v[8:9], v[2:3], v[8:9]
	s_waitcnt vmcnt(7)
	v_mul_f64 v[2:3], v[12:13], -v[20:21]
	v_mul_f64 v[4:5], v[12:13], v[18:19]
	v_fmac_f64_e32 v[2:3], v[18:19], v[10:11]
	v_fmac_f64_e32 v[4:5], v[20:21], v[10:11]
	s_waitcnt vmcnt(6)
	v_mul_f64 v[14:15], v[8:9], -v[24:25]
	v_mul_f64 v[18:19], v[8:9], v[22:23]
	s_waitcnt vmcnt(5)
	v_add_f64 v[2:3], v[26:27], -v[2:3]
	v_add_f64 v[4:5], v[28:29], -v[4:5]
	v_fmac_f64_e32 v[14:15], v[22:23], v[6:7]
	v_fmac_f64_e32 v[18:19], v[24:25], v[6:7]
	v_lshl_add_u64 v[16:17], s[8:9], 0, v[0:1]
	v_add_f64 v[2:3], v[2:3], -v[14:15]
	v_add_f64 v[4:5], v[4:5], -v[18:19]
	global_store_dwordx4 v[16:17], v[2:5], off
	s_waitcnt vmcnt(4)
	v_mul_f64 v[14:15], v[8:9], -v[40:41]
	v_mul_f64 v[16:17], v[38:39], v[8:9]
	v_mul_f64 v[2:3], v[12:13], -v[32:33]
	v_mul_f64 v[4:5], v[12:13], v[30:31]
	v_fmac_f64_e32 v[2:3], v[30:31], v[10:11]
	v_fmac_f64_e32 v[4:5], v[32:33], v[10:11]
	s_waitcnt vmcnt(3)
	v_add_f64 v[2:3], v[34:35], -v[2:3]
	v_add_f64 v[4:5], v[36:37], -v[4:5]
	v_fmac_f64_e32 v[14:15], v[38:39], v[6:7]
	v_fmac_f64_e32 v[16:17], v[40:41], v[6:7]
	v_add_f64 v[2:3], v[2:3], -v[14:15]
	v_add_f64 v[4:5], v[4:5], -v[16:17]
	v_lshl_add_u64 v[14:15], s[18:19], 0, v[0:1]
	global_store_dwordx4 v[14:15], v[2:5], off
	s_waitcnt vmcnt(3)
	s_nop 0
	v_mul_f64 v[2:3], v[12:13], v[44:45]
	v_mul_f64 v[4:5], v[12:13], -v[42:43]
	v_fma_f64 v[2:3], -v[42:43], v[10:11], v[2:3]
	v_fma_f64 v[4:5], -v[44:45], v[10:11], v[4:5]
	v_lshl_add_u64 v[10:11], s[6:7], 0, v[0:1]
	global_store_dwordx4 v[10:11], v[2:5], off
	v_lshl_add_u64 v[0:1], s[2:3], 0, v[0:1]
	s_waitcnt vmcnt(3)
	v_mul_f64 v[2:3], v[8:9], v[48:49]
	v_mul_f64 v[4:5], v[8:9], -v[46:47]
	v_fma_f64 v[2:3], -v[46:47], v[6:7], v[2:3]
	v_fma_f64 v[4:5], -v[48:49], v[6:7], v[4:5]
	global_store_dwordx4 v[0:1], v[2:5], off
	s_endpgm
	.section	.rodata,"a",@progbits
	.p2align	6, 0x0
	.amdhsa_kernel _ZN9rocsparseL49gtsv_nopivot_strided_batch_pcr_pow2_stage1_kernelILj256E21rocsparse_complex_numIdEEEviiiiPKT0_S5_S5_S5_PS3_S6_S6_S6_
		.amdhsa_group_segment_fixed_size 0
		.amdhsa_private_segment_fixed_size 0
		.amdhsa_kernarg_size 80
		.amdhsa_user_sgpr_count 2
		.amdhsa_user_sgpr_dispatch_ptr 0
		.amdhsa_user_sgpr_queue_ptr 0
		.amdhsa_user_sgpr_kernarg_segment_ptr 1
		.amdhsa_user_sgpr_dispatch_id 0
		.amdhsa_user_sgpr_kernarg_preload_length 0
		.amdhsa_user_sgpr_kernarg_preload_offset 0
		.amdhsa_user_sgpr_private_segment_size 0
		.amdhsa_uses_dynamic_stack 0
		.amdhsa_enable_private_segment 0
		.amdhsa_system_sgpr_workgroup_id_x 1
		.amdhsa_system_sgpr_workgroup_id_y 1
		.amdhsa_system_sgpr_workgroup_id_z 0
		.amdhsa_system_sgpr_workgroup_info 0
		.amdhsa_system_vgpr_workitem_id 0
		.amdhsa_next_free_vgpr 60
		.amdhsa_next_free_sgpr 26
		.amdhsa_accum_offset 60
		.amdhsa_reserve_vcc 1
		.amdhsa_float_round_mode_32 0
		.amdhsa_float_round_mode_16_64 0
		.amdhsa_float_denorm_mode_32 3
		.amdhsa_float_denorm_mode_16_64 3
		.amdhsa_dx10_clamp 1
		.amdhsa_ieee_mode 1
		.amdhsa_fp16_overflow 0
		.amdhsa_tg_split 0
		.amdhsa_exception_fp_ieee_invalid_op 0
		.amdhsa_exception_fp_denorm_src 0
		.amdhsa_exception_fp_ieee_div_zero 0
		.amdhsa_exception_fp_ieee_overflow 0
		.amdhsa_exception_fp_ieee_underflow 0
		.amdhsa_exception_fp_ieee_inexact 0
		.amdhsa_exception_int_div_zero 0
	.end_amdhsa_kernel
	.section	.text._ZN9rocsparseL49gtsv_nopivot_strided_batch_pcr_pow2_stage1_kernelILj256E21rocsparse_complex_numIdEEEviiiiPKT0_S5_S5_S5_PS3_S6_S6_S6_,"axG",@progbits,_ZN9rocsparseL49gtsv_nopivot_strided_batch_pcr_pow2_stage1_kernelILj256E21rocsparse_complex_numIdEEEviiiiPKT0_S5_S5_S5_PS3_S6_S6_S6_,comdat
.Lfunc_end80:
	.size	_ZN9rocsparseL49gtsv_nopivot_strided_batch_pcr_pow2_stage1_kernelILj256E21rocsparse_complex_numIdEEEviiiiPKT0_S5_S5_S5_PS3_S6_S6_S6_, .Lfunc_end80-_ZN9rocsparseL49gtsv_nopivot_strided_batch_pcr_pow2_stage1_kernelILj256E21rocsparse_complex_numIdEEEviiiiPKT0_S5_S5_S5_PS3_S6_S6_S6_
                                        ; -- End function
	.set _ZN9rocsparseL49gtsv_nopivot_strided_batch_pcr_pow2_stage1_kernelILj256E21rocsparse_complex_numIdEEEviiiiPKT0_S5_S5_S5_PS3_S6_S6_S6_.num_vgpr, 60
	.set _ZN9rocsparseL49gtsv_nopivot_strided_batch_pcr_pow2_stage1_kernelILj256E21rocsparse_complex_numIdEEEviiiiPKT0_S5_S5_S5_PS3_S6_S6_S6_.num_agpr, 0
	.set _ZN9rocsparseL49gtsv_nopivot_strided_batch_pcr_pow2_stage1_kernelILj256E21rocsparse_complex_numIdEEEviiiiPKT0_S5_S5_S5_PS3_S6_S6_S6_.numbered_sgpr, 26
	.set _ZN9rocsparseL49gtsv_nopivot_strided_batch_pcr_pow2_stage1_kernelILj256E21rocsparse_complex_numIdEEEviiiiPKT0_S5_S5_S5_PS3_S6_S6_S6_.num_named_barrier, 0
	.set _ZN9rocsparseL49gtsv_nopivot_strided_batch_pcr_pow2_stage1_kernelILj256E21rocsparse_complex_numIdEEEviiiiPKT0_S5_S5_S5_PS3_S6_S6_S6_.private_seg_size, 0
	.set _ZN9rocsparseL49gtsv_nopivot_strided_batch_pcr_pow2_stage1_kernelILj256E21rocsparse_complex_numIdEEEviiiiPKT0_S5_S5_S5_PS3_S6_S6_S6_.uses_vcc, 1
	.set _ZN9rocsparseL49gtsv_nopivot_strided_batch_pcr_pow2_stage1_kernelILj256E21rocsparse_complex_numIdEEEviiiiPKT0_S5_S5_S5_PS3_S6_S6_S6_.uses_flat_scratch, 0
	.set _ZN9rocsparseL49gtsv_nopivot_strided_batch_pcr_pow2_stage1_kernelILj256E21rocsparse_complex_numIdEEEviiiiPKT0_S5_S5_S5_PS3_S6_S6_S6_.has_dyn_sized_stack, 0
	.set _ZN9rocsparseL49gtsv_nopivot_strided_batch_pcr_pow2_stage1_kernelILj256E21rocsparse_complex_numIdEEEviiiiPKT0_S5_S5_S5_PS3_S6_S6_S6_.has_recursion, 0
	.set _ZN9rocsparseL49gtsv_nopivot_strided_batch_pcr_pow2_stage1_kernelILj256E21rocsparse_complex_numIdEEEviiiiPKT0_S5_S5_S5_PS3_S6_S6_S6_.has_indirect_call, 0
	.section	.AMDGPU.csdata,"",@progbits
; Kernel info:
; codeLenInByte = 980
; TotalNumSgprs: 32
; NumVgprs: 60
; NumAgprs: 0
; TotalNumVgprs: 60
; ScratchSize: 0
; MemoryBound: 0
; FloatMode: 240
; IeeeMode: 1
; LDSByteSize: 0 bytes/workgroup (compile time only)
; SGPRBlocks: 3
; VGPRBlocks: 7
; NumSGPRsForWavesPerEU: 32
; NumVGPRsForWavesPerEU: 60
; AccumOffset: 60
; Occupancy: 8
; WaveLimiterHint : 0
; COMPUTE_PGM_RSRC2:SCRATCH_EN: 0
; COMPUTE_PGM_RSRC2:USER_SGPR: 2
; COMPUTE_PGM_RSRC2:TRAP_HANDLER: 0
; COMPUTE_PGM_RSRC2:TGID_X_EN: 1
; COMPUTE_PGM_RSRC2:TGID_Y_EN: 1
; COMPUTE_PGM_RSRC2:TGID_Z_EN: 0
; COMPUTE_PGM_RSRC2:TIDIG_COMP_CNT: 0
; COMPUTE_PGM_RSRC3_GFX90A:ACCUM_OFFSET: 14
; COMPUTE_PGM_RSRC3_GFX90A:TG_SPLIT: 0
	.section	.text._ZN9rocsparseL48gtsv_nopivot_strided_batch_cr_pow2_stage2_kernelILj256E21rocsparse_complex_numIdEEEviiiPKT0_S5_S5_S5_PS3_,"axG",@progbits,_ZN9rocsparseL48gtsv_nopivot_strided_batch_cr_pow2_stage2_kernelILj256E21rocsparse_complex_numIdEEEviiiPKT0_S5_S5_S5_PS3_,comdat
	.globl	_ZN9rocsparseL48gtsv_nopivot_strided_batch_cr_pow2_stage2_kernelILj256E21rocsparse_complex_numIdEEEviiiPKT0_S5_S5_S5_PS3_ ; -- Begin function _ZN9rocsparseL48gtsv_nopivot_strided_batch_cr_pow2_stage2_kernelILj256E21rocsparse_complex_numIdEEEviiiPKT0_S5_S5_S5_PS3_
	.p2align	8
	.type	_ZN9rocsparseL48gtsv_nopivot_strided_batch_cr_pow2_stage2_kernelILj256E21rocsparse_complex_numIdEEEviiiPKT0_S5_S5_S5_PS3_,@function
_ZN9rocsparseL48gtsv_nopivot_strided_batch_cr_pow2_stage2_kernelILj256E21rocsparse_complex_numIdEEEviiiPKT0_S5_S5_S5_PS3_: ; @_ZN9rocsparseL48gtsv_nopivot_strided_batch_cr_pow2_stage2_kernelILj256E21rocsparse_complex_numIdEEEviiiPKT0_S5_S5_S5_PS3_
; %bb.0:
	s_load_dword s12, s[0:1], 0x38
	s_load_dword s13, s[0:1], 0x0
	s_load_dwordx8 s[4:11], s[0:1], 0x10
	v_mov_b32_e32 v3, 0
	s_waitcnt lgkmcnt(0)
	v_mul_lo_u32 v1, s12, v0
	v_add_u32_e32 v6, s2, v1
	s_mul_i32 s13, s13, s3
	v_add_u32_e32 v2, s13, v6
	v_lshlrev_b64 v[4:5], 4, v[2:3]
	v_lshl_add_u64 v[8:9], s[4:5], 0, v[4:5]
	global_load_dwordx4 v[8:11], v[8:9], off
	v_lshl_add_u64 v[12:13], s[6:7], 0, v[4:5]
	v_lshl_add_u32 v7, s12, 8, v6
	global_load_dwordx4 v[12:15], v[12:13], off
	v_lshl_add_u64 v[16:17], s[8:9], 0, v[4:5]
	v_add_u32_e32 v2, s13, v7
	global_load_dwordx4 v[16:19], v[16:17], off
	v_lshl_add_u64 v[4:5], s[10:11], 0, v[4:5]
	v_lshlrev_b64 v[2:3], 4, v[2:3]
	global_load_dwordx4 v[20:23], v[4:5], off
	v_lshl_add_u64 v[4:5], s[4:5], 0, v[2:3]
	global_load_dwordx4 v[24:27], v[4:5], off
	v_lshl_add_u64 v[4:5], s[6:7], 0, v[2:3]
	;; [unrolled: 2-line block ×4, first 2 shown]
	global_load_dwordx4 v[36:39], v[2:3], off
	s_mov_b32 s4, 0
	s_mov_b32 s6, s4
	;; [unrolled: 1-line block ×3, first 2 shown]
	s_movk_i32 s2, 0x100
	s_mov_b32 s5, s4
	v_mov_b64_e32 v[46:47], s[6:7]
	v_lshlrev_b32_e32 v1, 4, v0
	v_add_u32_e32 v2, 1, v0
	v_mov_b64_e32 v[44:45], s[4:5]
	v_cmp_gt_u32_e64 s[20:21], s2, v0
	v_or_b32_e32 v3, 0x2000, v1
	v_or_b32_e32 v4, 0x4000, v1
	;; [unrolled: 1-line block ×7, first 2 shown]
	ds_write_b128 v1, v[44:47] offset:24576
	ds_write_b128 v1, v[44:47] offset:28672
	s_waitcnt vmcnt(7)
	ds_write2_b64 v1, v[8:9], v[10:11] offset1:1
	s_waitcnt vmcnt(6)
	ds_write2_b64 v3, v[12:13], v[14:15] offset1:1
	;; [unrolled: 2-line block ×8, first 2 shown]
	s_waitcnt lgkmcnt(0)
	s_barrier
	s_and_saveexec_b64 s[4:5], s[20:21]
	s_cbranch_execz .LBB81_2
; %bb.1:
	v_lshlrev_b32_e32 v3, 5, v2
	ds_read_b128 v[8:11], v3 offset:8160
	ds_read_b128 v[12:15], v3 offset:8176
	v_lshlrev_b32_e32 v4, 1, v2
	v_min_u32_e32 v30, 0x1ff, v4
	v_add_u32_e32 v40, -16, v3
	s_waitcnt lgkmcnt(1)
	v_mul_f64 v[4:5], v[10:11], v[10:11]
	v_fmac_f64_e32 v[4:5], v[8:9], v[8:9]
	v_div_scale_f64 v[20:21], s[6:7], v[4:5], v[4:5], 1.0
	v_rcp_f64_e32 v[22:23], v[20:21]
	ds_read_b128 v[16:19], v40
	v_lshlrev_b32_e32 v41, 4, v30
	v_subrev_u32_e32 v28, 32, v3
	v_fma_f64 v[24:25], -v[20:21], v[22:23], 1.0
	v_fmac_f64_e32 v[22:23], v[22:23], v[24:25]
	v_fma_f64 v[24:25], -v[20:21], v[22:23], 1.0
	v_fmac_f64_e32 v[22:23], v[22:23], v[24:25]
	v_div_scale_f64 v[24:25], vcc, 1.0, v[4:5], 1.0
	v_mul_f64 v[26:27], v[24:25], v[22:23]
	v_fma_f64 v[20:21], -v[20:21], v[26:27], v[24:25]
	s_nop 1
	v_div_fmas_f64 v[20:21], v[20:21], v[22:23], v[26:27]
	ds_read_b128 v[24:27], v41 offset:8192
	v_div_fixup_f64 v[4:5], v[20:21], v[4:5], 1.0
	ds_read_b128 v[20:23], v28
	s_waitcnt lgkmcnt(2)
	v_mul_f64 v[28:29], v[10:11], v[18:19]
	v_fmac_f64_e32 v[28:29], v[16:17], v[8:9]
	v_mul_f64 v[32:33], v[4:5], v[28:29]
	v_mul_f64 v[10:11], v[10:11], -v[16:17]
	ds_read_b128 v[28:31], v41 offset:16384
	s_waitcnt lgkmcnt(2)
	v_mul_f64 v[16:17], v[26:27], v[26:27]
	v_fmac_f64_e32 v[16:17], v[24:25], v[24:25]
	v_div_scale_f64 v[34:35], s[6:7], v[16:17], v[16:17], 1.0
	v_rcp_f64_e32 v[36:37], v[34:35]
	v_fmac_f64_e32 v[10:11], v[18:19], v[8:9]
	v_mul_f64 v[4:5], v[4:5], v[10:11]
	ds_read_b128 v[8:11], v3 offset:16368
	v_fma_f64 v[18:19], -v[34:35], v[36:37], 1.0
	v_fmac_f64_e32 v[36:37], v[36:37], v[18:19]
	v_fma_f64 v[18:19], -v[34:35], v[36:37], 1.0
	v_fmac_f64_e32 v[36:37], v[36:37], v[18:19]
	v_div_scale_f64 v[18:19], vcc, 1.0, v[16:17], 1.0
	v_mul_f64 v[38:39], v[18:19], v[36:37]
	v_fma_f64 v[18:19], -v[34:35], v[38:39], v[18:19]
	s_nop 1
	v_div_fmas_f64 v[18:19], v[18:19], v[36:37], v[38:39]
	v_div_fixup_f64 v[34:35], v[18:19], v[16:17], 1.0
	ds_read_b128 v[16:19], v3 offset:16352
	s_waitcnt lgkmcnt(1)
	v_mul_f64 v[36:37], v[26:27], v[10:11]
	v_fmac_f64_e32 v[36:37], v[8:9], v[24:25]
	v_mul_f64 v[8:9], v[26:27], -v[8:9]
	v_fmac_f64_e32 v[8:9], v[10:11], v[24:25]
	v_mul_f64 v[24:25], v[34:35], v[8:9]
	ds_read_b128 v[8:11], v41
	s_waitcnt lgkmcnt(1)
	v_mul_f64 v[26:27], v[4:5], -v[18:19]
	v_fmac_f64_e32 v[26:27], v[16:17], v[32:33]
	v_mul_f64 v[16:17], v[4:5], v[16:17]
	v_fmac_f64_e32 v[16:17], v[18:19], v[32:33]
	v_mul_f64 v[36:37], v[34:35], v[36:37]
	v_add_f64 v[18:19], v[12:13], -v[26:27]
	v_add_f64 v[26:27], v[14:15], -v[16:17]
	ds_read_b128 v[12:15], v41 offset:32768
	s_waitcnt lgkmcnt(1)
	v_mul_f64 v[16:17], v[24:25], -v[10:11]
	v_mul_f64 v[34:35], v[24:25], v[8:9]
	v_fmac_f64_e32 v[16:17], v[8:9], v[36:37]
	v_fmac_f64_e32 v[34:35], v[10:11], v[36:37]
	ds_read_b128 v[8:11], v3 offset:32736
	v_add_f64 v[16:17], v[18:19], -v[16:17]
	v_add_f64 v[18:19], v[26:27], -v[34:35]
	ds_write_b128 v3, v[16:19] offset:8176
	ds_read_b128 v[16:19], v3 offset:32752
	s_waitcnt lgkmcnt(2)
	v_mul_f64 v[26:27], v[4:5], -v[10:11]
	v_fmac_f64_e32 v[26:27], v[8:9], v[32:33]
	v_mul_f64 v[8:9], v[4:5], v[8:9]
	v_fmac_f64_e32 v[8:9], v[10:11], v[32:33]
	s_waitcnt lgkmcnt(0)
	v_add_f64 v[10:11], v[16:17], -v[26:27]
	v_add_f64 v[16:17], v[18:19], -v[8:9]
	v_mul_f64 v[8:9], v[24:25], -v[14:15]
	v_fmac_f64_e32 v[8:9], v[12:13], v[36:37]
	v_mul_f64 v[12:13], v[24:25], v[12:13]
	v_fmac_f64_e32 v[12:13], v[14:15], v[36:37]
	v_add_f64 v[8:9], v[10:11], -v[8:9]
	v_add_f64 v[10:11], v[16:17], -v[12:13]
	ds_write_b128 v3, v[8:11] offset:32752
	v_mul_f64 v[8:9], v[4:5], v[22:23]
	v_mul_f64 v[4:5], v[4:5], -v[20:21]
	v_fma_f64 v[8:9], -v[20:21], v[32:33], v[8:9]
	v_fma_f64 v[10:11], -v[22:23], v[32:33], v[4:5]
	v_mul_f64 v[4:5], v[24:25], v[30:31]
	ds_write_b128 v40, v[8:11]
	v_fma_f64 v[8:9], -v[28:29], v[36:37], v[4:5]
	v_mul_f64 v[4:5], v[24:25], -v[28:29]
	v_fma_f64 v[10:11], -v[30:31], v[36:37], v[4:5]
	ds_write_b128 v3, v[8:11] offset:16368
.LBB81_2:
	s_or_b64 exec, exec, s[4:5]
	s_movk_i32 s2, 0x80
	v_cmp_gt_u32_e64 s[4:5], s2, v0
	s_waitcnt lgkmcnt(0)
	s_barrier
	s_and_saveexec_b64 s[6:7], s[4:5]
	s_cbranch_execz .LBB81_4
; %bb.3:
	v_lshlrev_b32_e32 v3, 6, v2
	ds_read_b128 v[8:11], v3 offset:8144
	ds_read_b128 v[12:15], v3 offset:8176
	v_lshl_or_b32 v4, v2, 2, 1
	v_min_u32_e32 v30, 0x1ff, v4
	v_add_u32_e32 v40, -16, v3
	s_waitcnt lgkmcnt(1)
	v_mul_f64 v[4:5], v[10:11], v[10:11]
	v_fmac_f64_e32 v[4:5], v[8:9], v[8:9]
	v_div_scale_f64 v[20:21], s[8:9], v[4:5], v[4:5], 1.0
	v_rcp_f64_e32 v[22:23], v[20:21]
	ds_read_b128 v[16:19], v40
	v_lshlrev_b32_e32 v41, 4, v30
	v_subrev_u32_e32 v28, 48, v3
	v_fma_f64 v[24:25], -v[20:21], v[22:23], 1.0
	v_fmac_f64_e32 v[22:23], v[22:23], v[24:25]
	v_fma_f64 v[24:25], -v[20:21], v[22:23], 1.0
	v_fmac_f64_e32 v[22:23], v[22:23], v[24:25]
	v_div_scale_f64 v[24:25], vcc, 1.0, v[4:5], 1.0
	v_mul_f64 v[26:27], v[24:25], v[22:23]
	v_fma_f64 v[20:21], -v[20:21], v[26:27], v[24:25]
	s_nop 1
	v_div_fmas_f64 v[20:21], v[20:21], v[22:23], v[26:27]
	ds_read_b128 v[24:27], v41 offset:8192
	v_div_fixup_f64 v[4:5], v[20:21], v[4:5], 1.0
	ds_read_b128 v[20:23], v28
	s_waitcnt lgkmcnt(2)
	v_mul_f64 v[28:29], v[10:11], v[18:19]
	v_fmac_f64_e32 v[28:29], v[16:17], v[8:9]
	v_mul_f64 v[32:33], v[4:5], v[28:29]
	v_mul_f64 v[10:11], v[10:11], -v[16:17]
	ds_read_b128 v[28:31], v41 offset:16384
	s_waitcnt lgkmcnt(2)
	v_mul_f64 v[16:17], v[26:27], v[26:27]
	v_fmac_f64_e32 v[16:17], v[24:25], v[24:25]
	v_div_scale_f64 v[34:35], s[8:9], v[16:17], v[16:17], 1.0
	v_rcp_f64_e32 v[36:37], v[34:35]
	v_fmac_f64_e32 v[10:11], v[18:19], v[8:9]
	v_mul_f64 v[4:5], v[4:5], v[10:11]
	ds_read_b128 v[8:11], v3 offset:16368
	v_fma_f64 v[18:19], -v[34:35], v[36:37], 1.0
	v_fmac_f64_e32 v[36:37], v[36:37], v[18:19]
	v_fma_f64 v[18:19], -v[34:35], v[36:37], 1.0
	v_fmac_f64_e32 v[36:37], v[36:37], v[18:19]
	v_div_scale_f64 v[18:19], vcc, 1.0, v[16:17], 1.0
	v_mul_f64 v[38:39], v[18:19], v[36:37]
	v_fma_f64 v[18:19], -v[34:35], v[38:39], v[18:19]
	s_nop 1
	v_div_fmas_f64 v[18:19], v[18:19], v[36:37], v[38:39]
	v_div_fixup_f64 v[34:35], v[18:19], v[16:17], 1.0
	ds_read_b128 v[16:19], v3 offset:16336
	s_waitcnt lgkmcnt(1)
	v_mul_f64 v[36:37], v[26:27], v[10:11]
	v_fmac_f64_e32 v[36:37], v[8:9], v[24:25]
	v_mul_f64 v[8:9], v[26:27], -v[8:9]
	v_fmac_f64_e32 v[8:9], v[10:11], v[24:25]
	v_mul_f64 v[24:25], v[34:35], v[8:9]
	ds_read_b128 v[8:11], v41
	s_waitcnt lgkmcnt(1)
	v_mul_f64 v[26:27], v[4:5], -v[18:19]
	v_fmac_f64_e32 v[26:27], v[16:17], v[32:33]
	v_mul_f64 v[16:17], v[4:5], v[16:17]
	v_fmac_f64_e32 v[16:17], v[18:19], v[32:33]
	v_mul_f64 v[36:37], v[34:35], v[36:37]
	v_add_f64 v[18:19], v[12:13], -v[26:27]
	v_add_f64 v[26:27], v[14:15], -v[16:17]
	ds_read_b128 v[12:15], v41 offset:32768
	s_waitcnt lgkmcnt(1)
	v_mul_f64 v[16:17], v[24:25], -v[10:11]
	v_mul_f64 v[34:35], v[24:25], v[8:9]
	v_fmac_f64_e32 v[16:17], v[8:9], v[36:37]
	v_fmac_f64_e32 v[34:35], v[10:11], v[36:37]
	ds_read_b128 v[8:11], v3 offset:32720
	v_add_f64 v[16:17], v[18:19], -v[16:17]
	v_add_f64 v[18:19], v[26:27], -v[34:35]
	ds_write_b128 v3, v[16:19] offset:8176
	ds_read_b128 v[16:19], v3 offset:32752
	s_waitcnt lgkmcnt(2)
	v_mul_f64 v[26:27], v[4:5], -v[10:11]
	v_fmac_f64_e32 v[26:27], v[8:9], v[32:33]
	v_mul_f64 v[8:9], v[4:5], v[8:9]
	v_fmac_f64_e32 v[8:9], v[10:11], v[32:33]
	s_waitcnt lgkmcnt(0)
	v_add_f64 v[10:11], v[16:17], -v[26:27]
	v_add_f64 v[16:17], v[18:19], -v[8:9]
	v_mul_f64 v[8:9], v[24:25], -v[14:15]
	v_fmac_f64_e32 v[8:9], v[12:13], v[36:37]
	v_mul_f64 v[12:13], v[24:25], v[12:13]
	v_fmac_f64_e32 v[12:13], v[14:15], v[36:37]
	v_add_f64 v[8:9], v[10:11], -v[8:9]
	v_add_f64 v[10:11], v[16:17], -v[12:13]
	ds_write_b128 v3, v[8:11] offset:32752
	v_mul_f64 v[8:9], v[4:5], v[22:23]
	v_mul_f64 v[4:5], v[4:5], -v[20:21]
	v_fma_f64 v[8:9], -v[20:21], v[32:33], v[8:9]
	v_fma_f64 v[10:11], -v[22:23], v[32:33], v[4:5]
	v_mul_f64 v[4:5], v[24:25], v[30:31]
	ds_write_b128 v40, v[8:11]
	v_fma_f64 v[8:9], -v[28:29], v[36:37], v[4:5]
	v_mul_f64 v[4:5], v[24:25], -v[28:29]
	v_fma_f64 v[10:11], -v[30:31], v[36:37], v[4:5]
	ds_write_b128 v3, v[8:11] offset:16368
.LBB81_4:
	s_or_b64 exec, exec, s[6:7]
	v_cmp_gt_u32_e64 s[6:7], 64, v0
	s_waitcnt lgkmcnt(0)
	s_barrier
	s_and_saveexec_b64 s[8:9], s[6:7]
	s_cbranch_execz .LBB81_6
; %bb.5:
	v_lshlrev_b32_e32 v3, 7, v2
	ds_read_b128 v[8:11], v3 offset:8112
	ds_read_b128 v[12:15], v3 offset:8176
	v_lshl_or_b32 v4, v2, 3, 3
	v_min_u32_e32 v30, 0x1ff, v4
	v_add_u32_e32 v40, -16, v3
	s_waitcnt lgkmcnt(1)
	v_mul_f64 v[4:5], v[10:11], v[10:11]
	v_fmac_f64_e32 v[4:5], v[8:9], v[8:9]
	v_div_scale_f64 v[20:21], s[10:11], v[4:5], v[4:5], 1.0
	v_rcp_f64_e32 v[22:23], v[20:21]
	ds_read_b128 v[16:19], v40
	v_lshlrev_b32_e32 v41, 4, v30
	v_add_u32_e32 v28, 0xffffffb0, v3
	v_fma_f64 v[24:25], -v[20:21], v[22:23], 1.0
	v_fmac_f64_e32 v[22:23], v[22:23], v[24:25]
	v_fma_f64 v[24:25], -v[20:21], v[22:23], 1.0
	v_fmac_f64_e32 v[22:23], v[22:23], v[24:25]
	v_div_scale_f64 v[24:25], vcc, 1.0, v[4:5], 1.0
	v_mul_f64 v[26:27], v[24:25], v[22:23]
	v_fma_f64 v[20:21], -v[20:21], v[26:27], v[24:25]
	s_nop 1
	v_div_fmas_f64 v[20:21], v[20:21], v[22:23], v[26:27]
	ds_read_b128 v[24:27], v41 offset:8192
	v_div_fixup_f64 v[4:5], v[20:21], v[4:5], 1.0
	ds_read_b128 v[20:23], v28
	s_waitcnt lgkmcnt(2)
	v_mul_f64 v[28:29], v[10:11], v[18:19]
	v_fmac_f64_e32 v[28:29], v[16:17], v[8:9]
	v_mul_f64 v[32:33], v[4:5], v[28:29]
	v_mul_f64 v[10:11], v[10:11], -v[16:17]
	ds_read_b128 v[28:31], v41 offset:16384
	s_waitcnt lgkmcnt(2)
	v_mul_f64 v[16:17], v[26:27], v[26:27]
	v_fmac_f64_e32 v[16:17], v[24:25], v[24:25]
	v_div_scale_f64 v[34:35], s[10:11], v[16:17], v[16:17], 1.0
	v_rcp_f64_e32 v[36:37], v[34:35]
	v_fmac_f64_e32 v[10:11], v[18:19], v[8:9]
	v_mul_f64 v[4:5], v[4:5], v[10:11]
	ds_read_b128 v[8:11], v3 offset:16368
	v_fma_f64 v[18:19], -v[34:35], v[36:37], 1.0
	v_fmac_f64_e32 v[36:37], v[36:37], v[18:19]
	v_fma_f64 v[18:19], -v[34:35], v[36:37], 1.0
	v_fmac_f64_e32 v[36:37], v[36:37], v[18:19]
	v_div_scale_f64 v[18:19], vcc, 1.0, v[16:17], 1.0
	v_mul_f64 v[38:39], v[18:19], v[36:37]
	v_fma_f64 v[18:19], -v[34:35], v[38:39], v[18:19]
	s_nop 1
	v_div_fmas_f64 v[18:19], v[18:19], v[36:37], v[38:39]
	v_div_fixup_f64 v[34:35], v[18:19], v[16:17], 1.0
	ds_read_b128 v[16:19], v3 offset:16304
	s_waitcnt lgkmcnt(1)
	v_mul_f64 v[36:37], v[26:27], v[10:11]
	v_fmac_f64_e32 v[36:37], v[8:9], v[24:25]
	v_mul_f64 v[8:9], v[26:27], -v[8:9]
	v_fmac_f64_e32 v[8:9], v[10:11], v[24:25]
	v_mul_f64 v[24:25], v[34:35], v[8:9]
	ds_read_b128 v[8:11], v41
	s_waitcnt lgkmcnt(1)
	v_mul_f64 v[26:27], v[4:5], -v[18:19]
	v_fmac_f64_e32 v[26:27], v[16:17], v[32:33]
	v_mul_f64 v[16:17], v[4:5], v[16:17]
	v_fmac_f64_e32 v[16:17], v[18:19], v[32:33]
	v_mul_f64 v[36:37], v[34:35], v[36:37]
	v_add_f64 v[18:19], v[12:13], -v[26:27]
	v_add_f64 v[26:27], v[14:15], -v[16:17]
	ds_read_b128 v[12:15], v41 offset:32768
	s_waitcnt lgkmcnt(1)
	v_mul_f64 v[16:17], v[24:25], -v[10:11]
	v_mul_f64 v[34:35], v[24:25], v[8:9]
	v_fmac_f64_e32 v[16:17], v[8:9], v[36:37]
	v_fmac_f64_e32 v[34:35], v[10:11], v[36:37]
	ds_read_b128 v[8:11], v3 offset:32688
	v_add_f64 v[16:17], v[18:19], -v[16:17]
	v_add_f64 v[18:19], v[26:27], -v[34:35]
	ds_write_b128 v3, v[16:19] offset:8176
	ds_read_b128 v[16:19], v3 offset:32752
	s_waitcnt lgkmcnt(2)
	v_mul_f64 v[26:27], v[4:5], -v[10:11]
	v_fmac_f64_e32 v[26:27], v[8:9], v[32:33]
	v_mul_f64 v[8:9], v[4:5], v[8:9]
	v_fmac_f64_e32 v[8:9], v[10:11], v[32:33]
	s_waitcnt lgkmcnt(0)
	v_add_f64 v[10:11], v[16:17], -v[26:27]
	v_add_f64 v[16:17], v[18:19], -v[8:9]
	v_mul_f64 v[8:9], v[24:25], -v[14:15]
	v_fmac_f64_e32 v[8:9], v[12:13], v[36:37]
	v_mul_f64 v[12:13], v[24:25], v[12:13]
	v_fmac_f64_e32 v[12:13], v[14:15], v[36:37]
	v_add_f64 v[8:9], v[10:11], -v[8:9]
	v_add_f64 v[10:11], v[16:17], -v[12:13]
	ds_write_b128 v3, v[8:11] offset:32752
	v_mul_f64 v[8:9], v[4:5], v[22:23]
	v_mul_f64 v[4:5], v[4:5], -v[20:21]
	v_fma_f64 v[8:9], -v[20:21], v[32:33], v[8:9]
	v_fma_f64 v[10:11], -v[22:23], v[32:33], v[4:5]
	v_mul_f64 v[4:5], v[24:25], v[30:31]
	ds_write_b128 v40, v[8:11]
	v_fma_f64 v[8:9], -v[28:29], v[36:37], v[4:5]
	v_mul_f64 v[4:5], v[24:25], -v[28:29]
	v_fma_f64 v[10:11], -v[30:31], v[36:37], v[4:5]
	ds_write_b128 v3, v[8:11] offset:16368
.LBB81_6:
	s_or_b64 exec, exec, s[8:9]
	v_cmp_gt_u32_e64 s[8:9], 32, v0
	s_waitcnt lgkmcnt(0)
	s_barrier
	s_and_saveexec_b64 s[10:11], s[8:9]
	s_cbranch_execz .LBB81_8
; %bb.7:
	v_lshlrev_b32_e32 v3, 8, v2
	ds_read_b128 v[8:11], v3 offset:8048
	ds_read_b128 v[12:15], v3 offset:8176
	v_lshl_or_b32 v4, v2, 4, 7
	v_min_u32_e32 v30, 0x1ff, v4
	v_add_u32_e32 v40, -16, v3
	s_waitcnt lgkmcnt(1)
	v_mul_f64 v[4:5], v[10:11], v[10:11]
	v_fmac_f64_e32 v[4:5], v[8:9], v[8:9]
	v_div_scale_f64 v[20:21], s[12:13], v[4:5], v[4:5], 1.0
	v_rcp_f64_e32 v[22:23], v[20:21]
	ds_read_b128 v[16:19], v40
	v_lshlrev_b32_e32 v41, 4, v30
	v_add_u32_e32 v28, 0xffffff70, v3
	v_fma_f64 v[24:25], -v[20:21], v[22:23], 1.0
	v_fmac_f64_e32 v[22:23], v[22:23], v[24:25]
	v_fma_f64 v[24:25], -v[20:21], v[22:23], 1.0
	v_fmac_f64_e32 v[22:23], v[22:23], v[24:25]
	v_div_scale_f64 v[24:25], vcc, 1.0, v[4:5], 1.0
	v_mul_f64 v[26:27], v[24:25], v[22:23]
	v_fma_f64 v[20:21], -v[20:21], v[26:27], v[24:25]
	s_nop 1
	v_div_fmas_f64 v[20:21], v[20:21], v[22:23], v[26:27]
	ds_read_b128 v[24:27], v41 offset:8192
	v_div_fixup_f64 v[4:5], v[20:21], v[4:5], 1.0
	ds_read_b128 v[20:23], v28
	s_waitcnt lgkmcnt(2)
	v_mul_f64 v[28:29], v[10:11], v[18:19]
	v_fmac_f64_e32 v[28:29], v[16:17], v[8:9]
	v_mul_f64 v[32:33], v[4:5], v[28:29]
	v_mul_f64 v[10:11], v[10:11], -v[16:17]
	ds_read_b128 v[28:31], v41 offset:16384
	s_waitcnt lgkmcnt(2)
	v_mul_f64 v[16:17], v[26:27], v[26:27]
	v_fmac_f64_e32 v[16:17], v[24:25], v[24:25]
	v_div_scale_f64 v[34:35], s[12:13], v[16:17], v[16:17], 1.0
	v_rcp_f64_e32 v[36:37], v[34:35]
	v_fmac_f64_e32 v[10:11], v[18:19], v[8:9]
	v_mul_f64 v[4:5], v[4:5], v[10:11]
	ds_read_b128 v[8:11], v3 offset:16368
	v_fma_f64 v[18:19], -v[34:35], v[36:37], 1.0
	v_fmac_f64_e32 v[36:37], v[36:37], v[18:19]
	v_fma_f64 v[18:19], -v[34:35], v[36:37], 1.0
	v_fmac_f64_e32 v[36:37], v[36:37], v[18:19]
	v_div_scale_f64 v[18:19], vcc, 1.0, v[16:17], 1.0
	v_mul_f64 v[38:39], v[18:19], v[36:37]
	v_fma_f64 v[18:19], -v[34:35], v[38:39], v[18:19]
	s_nop 1
	v_div_fmas_f64 v[18:19], v[18:19], v[36:37], v[38:39]
	v_div_fixup_f64 v[34:35], v[18:19], v[16:17], 1.0
	ds_read_b128 v[16:19], v3 offset:16240
	s_waitcnt lgkmcnt(1)
	v_mul_f64 v[36:37], v[26:27], v[10:11]
	v_fmac_f64_e32 v[36:37], v[8:9], v[24:25]
	v_mul_f64 v[8:9], v[26:27], -v[8:9]
	v_fmac_f64_e32 v[8:9], v[10:11], v[24:25]
	v_mul_f64 v[24:25], v[34:35], v[8:9]
	ds_read_b128 v[8:11], v41
	s_waitcnt lgkmcnt(1)
	v_mul_f64 v[26:27], v[4:5], -v[18:19]
	v_fmac_f64_e32 v[26:27], v[16:17], v[32:33]
	v_mul_f64 v[16:17], v[4:5], v[16:17]
	v_fmac_f64_e32 v[16:17], v[18:19], v[32:33]
	v_mul_f64 v[36:37], v[34:35], v[36:37]
	v_add_f64 v[18:19], v[12:13], -v[26:27]
	v_add_f64 v[26:27], v[14:15], -v[16:17]
	ds_read_b128 v[12:15], v41 offset:32768
	s_waitcnt lgkmcnt(1)
	v_mul_f64 v[16:17], v[24:25], -v[10:11]
	v_mul_f64 v[34:35], v[24:25], v[8:9]
	v_fmac_f64_e32 v[16:17], v[8:9], v[36:37]
	v_fmac_f64_e32 v[34:35], v[10:11], v[36:37]
	ds_read_b128 v[8:11], v3 offset:32624
	v_add_f64 v[16:17], v[18:19], -v[16:17]
	v_add_f64 v[18:19], v[26:27], -v[34:35]
	ds_write_b128 v3, v[16:19] offset:8176
	ds_read_b128 v[16:19], v3 offset:32752
	s_waitcnt lgkmcnt(2)
	v_mul_f64 v[26:27], v[4:5], -v[10:11]
	v_fmac_f64_e32 v[26:27], v[8:9], v[32:33]
	v_mul_f64 v[8:9], v[4:5], v[8:9]
	v_fmac_f64_e32 v[8:9], v[10:11], v[32:33]
	s_waitcnt lgkmcnt(0)
	v_add_f64 v[10:11], v[16:17], -v[26:27]
	v_add_f64 v[16:17], v[18:19], -v[8:9]
	v_mul_f64 v[8:9], v[24:25], -v[14:15]
	v_fmac_f64_e32 v[8:9], v[12:13], v[36:37]
	v_mul_f64 v[12:13], v[24:25], v[12:13]
	v_fmac_f64_e32 v[12:13], v[14:15], v[36:37]
	v_add_f64 v[8:9], v[10:11], -v[8:9]
	v_add_f64 v[10:11], v[16:17], -v[12:13]
	ds_write_b128 v3, v[8:11] offset:32752
	v_mul_f64 v[8:9], v[4:5], v[22:23]
	v_mul_f64 v[4:5], v[4:5], -v[20:21]
	v_fma_f64 v[8:9], -v[20:21], v[32:33], v[8:9]
	v_fma_f64 v[10:11], -v[22:23], v[32:33], v[4:5]
	v_mul_f64 v[4:5], v[24:25], v[30:31]
	ds_write_b128 v40, v[8:11]
	v_fma_f64 v[8:9], -v[28:29], v[36:37], v[4:5]
	v_mul_f64 v[4:5], v[24:25], -v[28:29]
	v_fma_f64 v[10:11], -v[30:31], v[36:37], v[4:5]
	ds_write_b128 v3, v[8:11] offset:16368
.LBB81_8:
	s_or_b64 exec, exec, s[10:11]
	v_cmp_gt_u32_e64 s[10:11], 16, v0
	s_waitcnt lgkmcnt(0)
	s_barrier
	s_and_saveexec_b64 s[12:13], s[10:11]
	s_cbranch_execz .LBB81_10
; %bb.9:
	v_lshlrev_b32_e32 v3, 9, v2
	ds_read_b128 v[8:11], v3 offset:7920
	ds_read_b128 v[12:15], v3 offset:8176
	v_lshl_or_b32 v4, v2, 5, 15
	v_min_u32_e32 v30, 0x1ff, v4
	v_add_u32_e32 v40, -16, v3
	s_waitcnt lgkmcnt(1)
	v_mul_f64 v[4:5], v[10:11], v[10:11]
	v_fmac_f64_e32 v[4:5], v[8:9], v[8:9]
	v_div_scale_f64 v[20:21], s[14:15], v[4:5], v[4:5], 1.0
	v_rcp_f64_e32 v[22:23], v[20:21]
	ds_read_b128 v[16:19], v40
	v_lshlrev_b32_e32 v41, 4, v30
	v_add_u32_e32 v28, 0xfffffef0, v3
	v_fma_f64 v[24:25], -v[20:21], v[22:23], 1.0
	v_fmac_f64_e32 v[22:23], v[22:23], v[24:25]
	v_fma_f64 v[24:25], -v[20:21], v[22:23], 1.0
	v_fmac_f64_e32 v[22:23], v[22:23], v[24:25]
	v_div_scale_f64 v[24:25], vcc, 1.0, v[4:5], 1.0
	v_mul_f64 v[26:27], v[24:25], v[22:23]
	v_fma_f64 v[20:21], -v[20:21], v[26:27], v[24:25]
	s_nop 1
	v_div_fmas_f64 v[20:21], v[20:21], v[22:23], v[26:27]
	ds_read_b128 v[24:27], v41 offset:8192
	v_div_fixup_f64 v[4:5], v[20:21], v[4:5], 1.0
	ds_read_b128 v[20:23], v28
	s_waitcnt lgkmcnt(2)
	v_mul_f64 v[28:29], v[10:11], v[18:19]
	v_fmac_f64_e32 v[28:29], v[16:17], v[8:9]
	v_mul_f64 v[32:33], v[4:5], v[28:29]
	v_mul_f64 v[10:11], v[10:11], -v[16:17]
	ds_read_b128 v[28:31], v41 offset:16384
	s_waitcnt lgkmcnt(2)
	v_mul_f64 v[16:17], v[26:27], v[26:27]
	v_fmac_f64_e32 v[16:17], v[24:25], v[24:25]
	v_div_scale_f64 v[34:35], s[14:15], v[16:17], v[16:17], 1.0
	v_rcp_f64_e32 v[36:37], v[34:35]
	v_fmac_f64_e32 v[10:11], v[18:19], v[8:9]
	v_mul_f64 v[4:5], v[4:5], v[10:11]
	ds_read_b128 v[8:11], v3 offset:16368
	v_fma_f64 v[18:19], -v[34:35], v[36:37], 1.0
	v_fmac_f64_e32 v[36:37], v[36:37], v[18:19]
	v_fma_f64 v[18:19], -v[34:35], v[36:37], 1.0
	v_fmac_f64_e32 v[36:37], v[36:37], v[18:19]
	v_div_scale_f64 v[18:19], vcc, 1.0, v[16:17], 1.0
	v_mul_f64 v[38:39], v[18:19], v[36:37]
	v_fma_f64 v[18:19], -v[34:35], v[38:39], v[18:19]
	s_nop 1
	v_div_fmas_f64 v[18:19], v[18:19], v[36:37], v[38:39]
	v_div_fixup_f64 v[34:35], v[18:19], v[16:17], 1.0
	ds_read_b128 v[16:19], v3 offset:16112
	s_waitcnt lgkmcnt(1)
	v_mul_f64 v[36:37], v[26:27], v[10:11]
	v_fmac_f64_e32 v[36:37], v[8:9], v[24:25]
	v_mul_f64 v[8:9], v[26:27], -v[8:9]
	v_fmac_f64_e32 v[8:9], v[10:11], v[24:25]
	v_mul_f64 v[24:25], v[34:35], v[8:9]
	ds_read_b128 v[8:11], v41
	s_waitcnt lgkmcnt(1)
	v_mul_f64 v[26:27], v[4:5], -v[18:19]
	v_fmac_f64_e32 v[26:27], v[16:17], v[32:33]
	v_mul_f64 v[16:17], v[4:5], v[16:17]
	v_fmac_f64_e32 v[16:17], v[18:19], v[32:33]
	v_mul_f64 v[36:37], v[34:35], v[36:37]
	v_add_f64 v[18:19], v[12:13], -v[26:27]
	v_add_f64 v[26:27], v[14:15], -v[16:17]
	ds_read_b128 v[12:15], v41 offset:32768
	s_waitcnt lgkmcnt(1)
	v_mul_f64 v[16:17], v[24:25], -v[10:11]
	v_mul_f64 v[34:35], v[24:25], v[8:9]
	v_fmac_f64_e32 v[16:17], v[8:9], v[36:37]
	v_fmac_f64_e32 v[34:35], v[10:11], v[36:37]
	ds_read_b128 v[8:11], v3 offset:32496
	v_add_f64 v[16:17], v[18:19], -v[16:17]
	v_add_f64 v[18:19], v[26:27], -v[34:35]
	ds_write_b128 v3, v[16:19] offset:8176
	ds_read_b128 v[16:19], v3 offset:32752
	s_waitcnt lgkmcnt(2)
	v_mul_f64 v[26:27], v[4:5], -v[10:11]
	v_fmac_f64_e32 v[26:27], v[8:9], v[32:33]
	v_mul_f64 v[8:9], v[4:5], v[8:9]
	v_fmac_f64_e32 v[8:9], v[10:11], v[32:33]
	s_waitcnt lgkmcnt(0)
	v_add_f64 v[10:11], v[16:17], -v[26:27]
	v_add_f64 v[16:17], v[18:19], -v[8:9]
	v_mul_f64 v[8:9], v[24:25], -v[14:15]
	v_fmac_f64_e32 v[8:9], v[12:13], v[36:37]
	v_mul_f64 v[12:13], v[24:25], v[12:13]
	v_fmac_f64_e32 v[12:13], v[14:15], v[36:37]
	v_add_f64 v[8:9], v[10:11], -v[8:9]
	v_add_f64 v[10:11], v[16:17], -v[12:13]
	ds_write_b128 v3, v[8:11] offset:32752
	v_mul_f64 v[8:9], v[4:5], v[22:23]
	v_mul_f64 v[4:5], v[4:5], -v[20:21]
	v_fma_f64 v[8:9], -v[20:21], v[32:33], v[8:9]
	v_fma_f64 v[10:11], -v[22:23], v[32:33], v[4:5]
	v_mul_f64 v[4:5], v[24:25], v[30:31]
	ds_write_b128 v40, v[8:11]
	v_fma_f64 v[8:9], -v[28:29], v[36:37], v[4:5]
	v_mul_f64 v[4:5], v[24:25], -v[28:29]
	v_fma_f64 v[10:11], -v[30:31], v[36:37], v[4:5]
	ds_write_b128 v3, v[8:11] offset:16368
.LBB81_10:
	s_or_b64 exec, exec, s[12:13]
	v_cmp_gt_u32_e64 s[14:15], 8, v0
	s_waitcnt lgkmcnt(0)
	s_barrier
	s_and_saveexec_b64 s[12:13], s[14:15]
	s_cbranch_execz .LBB81_12
; %bb.11:
	v_lshlrev_b32_e32 v3, 10, v2
	ds_read_b128 v[8:11], v3 offset:7664
	ds_read_b128 v[12:15], v3 offset:8176
	v_lshl_or_b32 v4, v2, 6, 31
	v_min_u32_e32 v30, 0x1ff, v4
	v_add_u32_e32 v40, -16, v3
	s_waitcnt lgkmcnt(1)
	v_mul_f64 v[4:5], v[10:11], v[10:11]
	v_fmac_f64_e32 v[4:5], v[8:9], v[8:9]
	v_div_scale_f64 v[20:21], s[16:17], v[4:5], v[4:5], 1.0
	v_rcp_f64_e32 v[22:23], v[20:21]
	ds_read_b128 v[16:19], v40
	v_lshlrev_b32_e32 v41, 4, v30
	v_add_u32_e32 v28, 0xfffffdf0, v3
	v_fma_f64 v[24:25], -v[20:21], v[22:23], 1.0
	v_fmac_f64_e32 v[22:23], v[22:23], v[24:25]
	v_fma_f64 v[24:25], -v[20:21], v[22:23], 1.0
	v_fmac_f64_e32 v[22:23], v[22:23], v[24:25]
	v_div_scale_f64 v[24:25], vcc, 1.0, v[4:5], 1.0
	v_mul_f64 v[26:27], v[24:25], v[22:23]
	v_fma_f64 v[20:21], -v[20:21], v[26:27], v[24:25]
	s_nop 1
	v_div_fmas_f64 v[20:21], v[20:21], v[22:23], v[26:27]
	ds_read_b128 v[24:27], v41 offset:8192
	v_div_fixup_f64 v[4:5], v[20:21], v[4:5], 1.0
	ds_read_b128 v[20:23], v28
	s_waitcnt lgkmcnt(2)
	v_mul_f64 v[28:29], v[10:11], v[18:19]
	v_fmac_f64_e32 v[28:29], v[16:17], v[8:9]
	v_mul_f64 v[32:33], v[4:5], v[28:29]
	v_mul_f64 v[10:11], v[10:11], -v[16:17]
	ds_read_b128 v[28:31], v41 offset:16384
	s_waitcnt lgkmcnt(2)
	v_mul_f64 v[16:17], v[26:27], v[26:27]
	v_fmac_f64_e32 v[16:17], v[24:25], v[24:25]
	v_div_scale_f64 v[34:35], s[16:17], v[16:17], v[16:17], 1.0
	v_rcp_f64_e32 v[36:37], v[34:35]
	v_fmac_f64_e32 v[10:11], v[18:19], v[8:9]
	v_mul_f64 v[4:5], v[4:5], v[10:11]
	ds_read_b128 v[8:11], v3 offset:16368
	v_fma_f64 v[18:19], -v[34:35], v[36:37], 1.0
	v_fmac_f64_e32 v[36:37], v[36:37], v[18:19]
	v_fma_f64 v[18:19], -v[34:35], v[36:37], 1.0
	v_fmac_f64_e32 v[36:37], v[36:37], v[18:19]
	v_div_scale_f64 v[18:19], vcc, 1.0, v[16:17], 1.0
	v_mul_f64 v[38:39], v[18:19], v[36:37]
	v_fma_f64 v[18:19], -v[34:35], v[38:39], v[18:19]
	s_nop 1
	v_div_fmas_f64 v[18:19], v[18:19], v[36:37], v[38:39]
	v_div_fixup_f64 v[34:35], v[18:19], v[16:17], 1.0
	ds_read_b128 v[16:19], v3 offset:15856
	s_waitcnt lgkmcnt(1)
	v_mul_f64 v[36:37], v[26:27], v[10:11]
	v_fmac_f64_e32 v[36:37], v[8:9], v[24:25]
	v_mul_f64 v[8:9], v[26:27], -v[8:9]
	v_fmac_f64_e32 v[8:9], v[10:11], v[24:25]
	v_mul_f64 v[24:25], v[34:35], v[8:9]
	ds_read_b128 v[8:11], v41
	s_waitcnt lgkmcnt(1)
	v_mul_f64 v[26:27], v[4:5], -v[18:19]
	v_fmac_f64_e32 v[26:27], v[16:17], v[32:33]
	v_mul_f64 v[16:17], v[4:5], v[16:17]
	v_fmac_f64_e32 v[16:17], v[18:19], v[32:33]
	v_mul_f64 v[36:37], v[34:35], v[36:37]
	v_add_f64 v[18:19], v[12:13], -v[26:27]
	v_add_f64 v[26:27], v[14:15], -v[16:17]
	ds_read_b128 v[12:15], v41 offset:32768
	s_waitcnt lgkmcnt(1)
	v_mul_f64 v[16:17], v[24:25], -v[10:11]
	v_mul_f64 v[34:35], v[24:25], v[8:9]
	v_fmac_f64_e32 v[16:17], v[8:9], v[36:37]
	v_fmac_f64_e32 v[34:35], v[10:11], v[36:37]
	ds_read_b128 v[8:11], v3 offset:32240
	v_add_f64 v[16:17], v[18:19], -v[16:17]
	v_add_f64 v[18:19], v[26:27], -v[34:35]
	ds_write_b128 v3, v[16:19] offset:8176
	ds_read_b128 v[16:19], v3 offset:32752
	s_waitcnt lgkmcnt(2)
	v_mul_f64 v[26:27], v[4:5], -v[10:11]
	v_fmac_f64_e32 v[26:27], v[8:9], v[32:33]
	v_mul_f64 v[8:9], v[4:5], v[8:9]
	v_fmac_f64_e32 v[8:9], v[10:11], v[32:33]
	s_waitcnt lgkmcnt(0)
	v_add_f64 v[10:11], v[16:17], -v[26:27]
	v_add_f64 v[16:17], v[18:19], -v[8:9]
	v_mul_f64 v[8:9], v[24:25], -v[14:15]
	v_fmac_f64_e32 v[8:9], v[12:13], v[36:37]
	v_mul_f64 v[12:13], v[24:25], v[12:13]
	v_fmac_f64_e32 v[12:13], v[14:15], v[36:37]
	v_add_f64 v[8:9], v[10:11], -v[8:9]
	v_add_f64 v[10:11], v[16:17], -v[12:13]
	ds_write_b128 v3, v[8:11] offset:32752
	v_mul_f64 v[8:9], v[4:5], v[22:23]
	v_mul_f64 v[4:5], v[4:5], -v[20:21]
	v_fma_f64 v[8:9], -v[20:21], v[32:33], v[8:9]
	v_fma_f64 v[10:11], -v[22:23], v[32:33], v[4:5]
	v_mul_f64 v[4:5], v[24:25], v[30:31]
	ds_write_b128 v40, v[8:11]
	v_fma_f64 v[8:9], -v[28:29], v[36:37], v[4:5]
	v_mul_f64 v[4:5], v[24:25], -v[28:29]
	v_fma_f64 v[10:11], -v[30:31], v[36:37], v[4:5]
	ds_write_b128 v3, v[8:11] offset:16368
.LBB81_12:
	s_or_b64 exec, exec, s[12:13]
	v_cmp_gt_u32_e64 s[16:17], 4, v0
	s_waitcnt lgkmcnt(0)
	s_barrier
	s_and_saveexec_b64 s[12:13], s[16:17]
	s_cbranch_execz .LBB81_14
; %bb.13:
	v_lshlrev_b32_e32 v3, 11, v2
	ds_read_b128 v[8:11], v3 offset:7152
	ds_read_b128 v[12:15], v3 offset:8176
	v_lshl_or_b32 v4, v2, 7, 63
	v_min_u32_e32 v30, 0x1ff, v4
	v_add_u32_e32 v40, -16, v3
	s_waitcnt lgkmcnt(1)
	v_mul_f64 v[4:5], v[10:11], v[10:11]
	v_fmac_f64_e32 v[4:5], v[8:9], v[8:9]
	v_div_scale_f64 v[20:21], s[18:19], v[4:5], v[4:5], 1.0
	v_rcp_f64_e32 v[22:23], v[20:21]
	ds_read_b128 v[16:19], v40
	v_lshlrev_b32_e32 v41, 4, v30
	v_add_u32_e32 v28, 0xfffffbf0, v3
	v_fma_f64 v[24:25], -v[20:21], v[22:23], 1.0
	v_fmac_f64_e32 v[22:23], v[22:23], v[24:25]
	v_fma_f64 v[24:25], -v[20:21], v[22:23], 1.0
	v_fmac_f64_e32 v[22:23], v[22:23], v[24:25]
	v_div_scale_f64 v[24:25], vcc, 1.0, v[4:5], 1.0
	v_mul_f64 v[26:27], v[24:25], v[22:23]
	v_fma_f64 v[20:21], -v[20:21], v[26:27], v[24:25]
	s_nop 1
	v_div_fmas_f64 v[20:21], v[20:21], v[22:23], v[26:27]
	ds_read_b128 v[24:27], v41 offset:8192
	v_div_fixup_f64 v[4:5], v[20:21], v[4:5], 1.0
	ds_read_b128 v[20:23], v28
	s_waitcnt lgkmcnt(2)
	v_mul_f64 v[28:29], v[10:11], v[18:19]
	v_fmac_f64_e32 v[28:29], v[16:17], v[8:9]
	v_mul_f64 v[32:33], v[4:5], v[28:29]
	v_mul_f64 v[10:11], v[10:11], -v[16:17]
	ds_read_b128 v[28:31], v41 offset:16384
	s_waitcnt lgkmcnt(2)
	v_mul_f64 v[16:17], v[26:27], v[26:27]
	v_fmac_f64_e32 v[16:17], v[24:25], v[24:25]
	v_div_scale_f64 v[34:35], s[18:19], v[16:17], v[16:17], 1.0
	v_rcp_f64_e32 v[36:37], v[34:35]
	v_fmac_f64_e32 v[10:11], v[18:19], v[8:9]
	v_mul_f64 v[4:5], v[4:5], v[10:11]
	ds_read_b128 v[8:11], v3 offset:16368
	v_fma_f64 v[18:19], -v[34:35], v[36:37], 1.0
	v_fmac_f64_e32 v[36:37], v[36:37], v[18:19]
	v_fma_f64 v[18:19], -v[34:35], v[36:37], 1.0
	v_fmac_f64_e32 v[36:37], v[36:37], v[18:19]
	v_div_scale_f64 v[18:19], vcc, 1.0, v[16:17], 1.0
	v_mul_f64 v[38:39], v[18:19], v[36:37]
	v_fma_f64 v[18:19], -v[34:35], v[38:39], v[18:19]
	s_nop 1
	v_div_fmas_f64 v[18:19], v[18:19], v[36:37], v[38:39]
	v_div_fixup_f64 v[34:35], v[18:19], v[16:17], 1.0
	ds_read_b128 v[16:19], v3 offset:15344
	s_waitcnt lgkmcnt(1)
	v_mul_f64 v[36:37], v[26:27], v[10:11]
	v_fmac_f64_e32 v[36:37], v[8:9], v[24:25]
	v_mul_f64 v[8:9], v[26:27], -v[8:9]
	v_fmac_f64_e32 v[8:9], v[10:11], v[24:25]
	v_mul_f64 v[24:25], v[34:35], v[8:9]
	ds_read_b128 v[8:11], v41
	s_waitcnt lgkmcnt(1)
	v_mul_f64 v[26:27], v[4:5], -v[18:19]
	v_fmac_f64_e32 v[26:27], v[16:17], v[32:33]
	v_mul_f64 v[16:17], v[4:5], v[16:17]
	v_fmac_f64_e32 v[16:17], v[18:19], v[32:33]
	v_mul_f64 v[36:37], v[34:35], v[36:37]
	v_add_f64 v[18:19], v[12:13], -v[26:27]
	v_add_f64 v[26:27], v[14:15], -v[16:17]
	ds_read_b128 v[12:15], v41 offset:32768
	s_waitcnt lgkmcnt(1)
	v_mul_f64 v[16:17], v[24:25], -v[10:11]
	v_mul_f64 v[34:35], v[24:25], v[8:9]
	v_fmac_f64_e32 v[16:17], v[8:9], v[36:37]
	v_fmac_f64_e32 v[34:35], v[10:11], v[36:37]
	ds_read_b128 v[8:11], v3 offset:31728
	v_add_f64 v[16:17], v[18:19], -v[16:17]
	v_add_f64 v[18:19], v[26:27], -v[34:35]
	ds_write_b128 v3, v[16:19] offset:8176
	ds_read_b128 v[16:19], v3 offset:32752
	s_waitcnt lgkmcnt(2)
	v_mul_f64 v[26:27], v[4:5], -v[10:11]
	v_fmac_f64_e32 v[26:27], v[8:9], v[32:33]
	v_mul_f64 v[8:9], v[4:5], v[8:9]
	v_fmac_f64_e32 v[8:9], v[10:11], v[32:33]
	s_waitcnt lgkmcnt(0)
	v_add_f64 v[10:11], v[16:17], -v[26:27]
	v_add_f64 v[16:17], v[18:19], -v[8:9]
	v_mul_f64 v[8:9], v[24:25], -v[14:15]
	v_fmac_f64_e32 v[8:9], v[12:13], v[36:37]
	v_mul_f64 v[12:13], v[24:25], v[12:13]
	v_fmac_f64_e32 v[12:13], v[14:15], v[36:37]
	v_add_f64 v[8:9], v[10:11], -v[8:9]
	v_add_f64 v[10:11], v[16:17], -v[12:13]
	ds_write_b128 v3, v[8:11] offset:32752
	v_mul_f64 v[8:9], v[4:5], v[22:23]
	v_mul_f64 v[4:5], v[4:5], -v[20:21]
	v_fma_f64 v[8:9], -v[20:21], v[32:33], v[8:9]
	v_fma_f64 v[10:11], -v[22:23], v[32:33], v[4:5]
	v_mul_f64 v[4:5], v[24:25], v[30:31]
	ds_write_b128 v40, v[8:11]
	v_fma_f64 v[8:9], -v[28:29], v[36:37], v[4:5]
	v_mul_f64 v[4:5], v[24:25], -v[28:29]
	v_fma_f64 v[10:11], -v[30:31], v[36:37], v[4:5]
	ds_write_b128 v3, v[8:11] offset:16368
.LBB81_14:
	s_or_b64 exec, exec, s[12:13]
	v_cmp_gt_u32_e64 s[18:19], 2, v0
	s_waitcnt lgkmcnt(0)
	s_barrier
	s_and_saveexec_b64 s[12:13], s[18:19]
	s_cbranch_execz .LBB81_16
; %bb.15:
	v_lshlrev_b32_e32 v38, 12, v2
	ds_read_b128 v[8:11], v38 offset:6128
	v_mov_b32_e32 v3, 0x7f
	v_lshl_or_b32 v12, v2, 8, v3
	v_add_u32_e32 v39, -16, v38
	v_min_u32_e32 v28, 0x1ff, v12
	ds_read_b128 v[12:15], v39
	s_waitcnt lgkmcnt(1)
	v_mul_f64 v[16:17], v[10:11], v[10:11]
	v_fmac_f64_e32 v[16:17], v[8:9], v[8:9]
	v_div_scale_f64 v[18:19], s[22:23], v[16:17], v[16:17], 1.0
	v_rcp_f64_e32 v[20:21], v[18:19]
	v_lshlrev_b32_e32 v40, 4, v28
	v_add_u32_e32 v26, 0xfffff7f0, v38
	ds_read_b128 v[2:5], v38 offset:8176
	v_fma_f64 v[22:23], -v[18:19], v[20:21], 1.0
	v_fmac_f64_e32 v[20:21], v[20:21], v[22:23]
	v_fma_f64 v[22:23], -v[18:19], v[20:21], 1.0
	v_fmac_f64_e32 v[20:21], v[20:21], v[22:23]
	v_div_scale_f64 v[22:23], vcc, 1.0, v[16:17], 1.0
	v_mul_f64 v[24:25], v[22:23], v[20:21]
	v_fma_f64 v[18:19], -v[18:19], v[24:25], v[22:23]
	s_nop 1
	v_div_fmas_f64 v[18:19], v[18:19], v[20:21], v[24:25]
	ds_read_b128 v[20:23], v40 offset:8192
	v_div_fixup_f64 v[24:25], v[18:19], v[16:17], 1.0
	ds_read_b128 v[16:19], v26
	s_waitcnt lgkmcnt(3)
	v_mul_f64 v[26:27], v[10:11], v[14:15]
	v_fmac_f64_e32 v[26:27], v[12:13], v[8:9]
	v_mul_f64 v[32:33], v[24:25], v[26:27]
	v_mul_f64 v[26:27], v[10:11], -v[12:13]
	ds_read_b128 v[10:13], v40 offset:16384
	s_waitcnt lgkmcnt(2)
	v_mul_f64 v[28:29], v[22:23], v[22:23]
	v_fmac_f64_e32 v[28:29], v[20:21], v[20:21]
	v_div_scale_f64 v[30:31], s[22:23], v[28:29], v[28:29], 1.0
	v_rcp_f64_e32 v[34:35], v[30:31]
	v_fmac_f64_e32 v[26:27], v[14:15], v[8:9]
	v_mul_f64 v[8:9], v[24:25], v[26:27]
	ds_read_b128 v[24:27], v38 offset:16368
	v_fma_f64 v[14:15], -v[30:31], v[34:35], 1.0
	v_fmac_f64_e32 v[34:35], v[34:35], v[14:15]
	v_fma_f64 v[14:15], -v[30:31], v[34:35], 1.0
	v_fmac_f64_e32 v[34:35], v[34:35], v[14:15]
	v_div_scale_f64 v[14:15], vcc, 1.0, v[28:29], 1.0
	v_mul_f64 v[36:37], v[14:15], v[34:35]
	v_fma_f64 v[14:15], -v[30:31], v[36:37], v[14:15]
	s_nop 1
	v_div_fmas_f64 v[14:15], v[14:15], v[34:35], v[36:37]
	v_div_fixup_f64 v[14:15], v[14:15], v[28:29], 1.0
	ds_read_b128 v[28:31], v38 offset:14320
	s_waitcnt lgkmcnt(1)
	v_mul_f64 v[34:35], v[22:23], v[26:27]
	v_mul_f64 v[22:23], v[22:23], -v[24:25]
	v_fmac_f64_e32 v[34:35], v[24:25], v[20:21]
	v_fmac_f64_e32 v[22:23], v[26:27], v[20:21]
	v_mul_f64 v[34:35], v[14:15], v[34:35]
	v_mul_f64 v[14:15], v[14:15], v[22:23]
	ds_read_b128 v[20:23], v40
	s_waitcnt lgkmcnt(1)
	v_mul_f64 v[24:25], v[8:9], -v[30:31]
	v_mul_f64 v[26:27], v[8:9], v[28:29]
	v_fmac_f64_e32 v[24:25], v[28:29], v[32:33]
	v_fmac_f64_e32 v[26:27], v[30:31], v[32:33]
	v_add_f64 v[24:25], v[2:3], -v[24:25]
	v_add_f64 v[26:27], v[4:5], -v[26:27]
	ds_read_b128 v[2:5], v40 offset:32768
	s_waitcnt lgkmcnt(1)
	v_mul_f64 v[28:29], v[14:15], -v[22:23]
	v_mul_f64 v[30:31], v[14:15], v[20:21]
	v_fmac_f64_e32 v[28:29], v[20:21], v[34:35]
	v_fmac_f64_e32 v[30:31], v[22:23], v[34:35]
	ds_read_b128 v[20:23], v38 offset:30704
	v_add_f64 v[24:25], v[24:25], -v[28:29]
	v_add_f64 v[26:27], v[26:27], -v[30:31]
	ds_write_b128 v38, v[24:27] offset:8176
	ds_read_b128 v[24:27], v38 offset:32752
	s_waitcnt lgkmcnt(2)
	v_mul_f64 v[28:29], v[8:9], -v[22:23]
	v_fmac_f64_e32 v[28:29], v[20:21], v[32:33]
	v_mul_f64 v[20:21], v[8:9], v[20:21]
	v_fmac_f64_e32 v[20:21], v[22:23], v[32:33]
	s_waitcnt lgkmcnt(0)
	v_add_f64 v[22:23], v[24:25], -v[28:29]
	v_add_f64 v[20:21], v[26:27], -v[20:21]
	v_mul_f64 v[24:25], v[14:15], -v[4:5]
	v_mul_f64 v[26:27], v[14:15], v[2:3]
	v_fmac_f64_e32 v[24:25], v[2:3], v[34:35]
	v_fmac_f64_e32 v[26:27], v[4:5], v[34:35]
	v_add_f64 v[2:3], v[22:23], -v[24:25]
	v_add_f64 v[4:5], v[20:21], -v[26:27]
	ds_write_b128 v38, v[2:5] offset:32752
	v_mul_f64 v[2:3], v[8:9], v[18:19]
	v_mul_f64 v[4:5], v[8:9], -v[16:17]
	v_fma_f64 v[2:3], -v[16:17], v[32:33], v[2:3]
	v_fma_f64 v[4:5], -v[18:19], v[32:33], v[4:5]
	ds_write_b128 v39, v[2:5]
	v_mul_f64 v[2:3], v[14:15], v[12:13]
	v_mul_f64 v[4:5], v[14:15], -v[10:11]
	v_fma_f64 v[2:3], -v[10:11], v[34:35], v[2:3]
	v_fma_f64 v[4:5], -v[12:13], v[34:35], v[4:5]
	ds_write_b128 v38, v[2:5] offset:16368
.LBB81_16:
	s_or_b64 exec, exec, s[12:13]
	v_cmp_ne_u32_e64 s[12:13], 0, v0
	v_cmp_eq_u32_e32 vcc, 0, v0
	s_waitcnt lgkmcnt(0)
	s_barrier
	s_and_saveexec_b64 s[22:23], vcc
	s_cbranch_execz .LBB81_18
; %bb.17:
	v_mov_b32_e32 v34, 0
	ds_read_b128 v[2:5], v34 offset:16368
	ds_read_b128 v[8:11], v34 offset:12272
	ds_read_b128 v[12:15], v34 offset:8176
	ds_read_b128 v[16:19], v34 offset:20464
	s_waitcnt lgkmcnt(2)
	v_mul_f64 v[22:23], v[10:11], v[2:3]
	v_mul_f64 v[20:21], v[10:11], -v[4:5]
	s_waitcnt lgkmcnt(0)
	v_mul_f64 v[26:27], v[14:15], v[16:17]
	v_fmac_f64_e32 v[22:23], v[4:5], v[8:9]
	v_mul_f64 v[24:25], v[14:15], -v[18:19]
	v_fmac_f64_e32 v[26:27], v[18:19], v[12:13]
	v_fmac_f64_e32 v[20:21], v[2:3], v[8:9]
	;; [unrolled: 1-line block ×3, first 2 shown]
	v_add_f64 v[26:27], v[22:23], -v[26:27]
	v_add_f64 v[24:25], v[20:21], -v[24:25]
	v_mul_f64 v[20:21], v[26:27], v[26:27]
	v_fmac_f64_e32 v[20:21], v[24:25], v[24:25]
	v_div_scale_f64 v[22:23], s[24:25], v[20:21], v[20:21], 1.0
	v_rcp_f64_e32 v[28:29], v[22:23]
	s_nop 0
	v_fma_f64 v[30:31], -v[22:23], v[28:29], 1.0
	v_fmac_f64_e32 v[28:29], v[28:29], v[30:31]
	v_fma_f64 v[30:31], -v[22:23], v[28:29], 1.0
	v_fmac_f64_e32 v[28:29], v[28:29], v[30:31]
	v_div_scale_f64 v[30:31], vcc, 1.0, v[20:21], 1.0
	v_mul_f64 v[32:33], v[30:31], v[28:29]
	v_fma_f64 v[22:23], -v[22:23], v[32:33], v[30:31]
	v_fma_f64 v[30:31], 0, v[26:27], v[24:25]
	s_nop 0
	v_div_fmas_f64 v[22:23], v[22:23], v[28:29], v[32:33]
	v_div_fixup_f64 v[28:29], v[22:23], v[20:21], 1.0
	ds_read_b128 v[20:23], v34 offset:36848
	v_fma_f64 v[24:25], v[24:25], 0, -v[26:27]
	v_mul_f64 v[30:31], v[30:31], v[28:29]
	v_mul_f64 v[28:29], v[24:25], v[28:29]
	ds_read_b128 v[24:27], v34 offset:40944
	s_waitcnt lgkmcnt(1)
	v_mul_f64 v[32:33], v[22:23], -v[4:5]
	v_fmac_f64_e32 v[32:33], v[2:3], v[20:21]
	v_mul_f64 v[2:3], v[2:3], v[22:23]
	v_fmac_f64_e32 v[2:3], v[4:5], v[20:21]
	s_waitcnt lgkmcnt(0)
	v_mul_f64 v[4:5], v[26:27], -v[18:19]
	v_fmac_f64_e32 v[4:5], v[16:17], v[24:25]
	v_mul_f64 v[16:17], v[16:17], v[26:27]
	v_fmac_f64_e32 v[16:17], v[18:19], v[24:25]
	v_add_f64 v[16:17], v[2:3], -v[16:17]
	v_add_f64 v[4:5], v[32:33], -v[4:5]
	v_mul_f64 v[2:3], v[28:29], -v[16:17]
	v_fmac_f64_e32 v[2:3], v[4:5], v[30:31]
	v_mul_f64 v[4:5], v[28:29], v[4:5]
	v_fmac_f64_e32 v[4:5], v[16:17], v[30:31]
	ds_write_b128 v34, v[2:5] offset:28656
	v_mul_f64 v[2:3], v[10:11], -v[26:27]
	v_mul_f64 v[4:5], v[10:11], v[24:25]
	v_fmac_f64_e32 v[2:3], v[24:25], v[8:9]
	v_fmac_f64_e32 v[4:5], v[26:27], v[8:9]
	v_mul_f64 v[8:9], v[14:15], -v[22:23]
	v_mul_f64 v[10:11], v[14:15], v[20:21]
	v_fmac_f64_e32 v[8:9], v[20:21], v[12:13]
	v_fmac_f64_e32 v[10:11], v[22:23], v[12:13]
	v_add_f64 v[8:9], v[2:3], -v[8:9]
	v_add_f64 v[10:11], v[4:5], -v[10:11]
	v_mul_f64 v[2:3], v[28:29], -v[10:11]
	v_mul_f64 v[4:5], v[28:29], v[8:9]
	v_fmac_f64_e32 v[2:3], v[8:9], v[30:31]
	v_fmac_f64_e32 v[4:5], v[10:11], v[30:31]
	ds_write_b128 v34, v[2:5] offset:32752
.LBB81_18:
	s_or_b64 exec, exec, s[22:23]
	s_load_dwordx2 s[22:23], s[0:1], 0x30
	s_waitcnt lgkmcnt(0)
	s_barrier
	s_and_saveexec_b64 s[24:25], s[18:19]
	s_cbranch_execz .LBB81_24
; %bb.19:
	v_lshlrev_b32_e32 v2, 8, v0
	v_mov_b32_e32 v3, 0x8000
	v_lshl_add_u32 v9, v0, 12, v3
	v_lshlrev_b32_e32 v8, 4, v2
                                        ; implicit-def: $vgpr4_vgpr5
	s_and_saveexec_b64 s[18:19], s[12:13]
	s_xor_b64 s[18:19], exec, s[18:19]
	s_cbranch_execz .LBB81_21
; %bb.20:
	ds_read_b128 v[2:5], v8 offset:24560
	ds_read_b128 v[10:13], v8 offset:2032
	;; [unrolled: 1-line block ×6, first 2 shown]
	s_waitcnt lgkmcnt(4)
	v_mul_f64 v[30:31], v[4:5], -v[12:13]
	v_fmac_f64_e32 v[30:31], v[10:11], v[2:3]
	v_mul_f64 v[4:5], v[4:5], v[10:11]
	v_fmac_f64_e32 v[4:5], v[12:13], v[2:3]
	s_waitcnt lgkmcnt(3)
	v_add_f64 v[2:3], v[14:15], -v[30:31]
	s_waitcnt lgkmcnt(1)
	v_mul_f64 v[14:15], v[24:25], v[24:25]
	v_fmac_f64_e32 v[14:15], v[22:23], v[22:23]
	v_add_f64 v[4:5], v[16:17], -v[4:5]
	s_waitcnt lgkmcnt(0)
	v_mul_f64 v[10:11], v[28:29], -v[20:21]
	v_div_scale_f64 v[16:17], s[26:27], v[14:15], v[14:15], 1.0
	v_fmac_f64_e32 v[10:11], v[18:19], v[26:27]
	v_mul_f64 v[12:13], v[28:29], v[18:19]
	v_rcp_f64_e32 v[18:19], v[16:17]
	v_add_f64 v[10:11], v[2:3], -v[10:11]
	v_fmac_f64_e32 v[12:13], v[20:21], v[26:27]
	v_add_f64 v[4:5], v[4:5], -v[12:13]
	v_fma_f64 v[2:3], -v[16:17], v[18:19], 1.0
	v_fmac_f64_e32 v[18:19], v[18:19], v[2:3]
	v_fma_f64 v[2:3], -v[16:17], v[18:19], 1.0
	v_fmac_f64_e32 v[18:19], v[18:19], v[2:3]
	v_div_scale_f64 v[2:3], vcc, 1.0, v[14:15], 1.0
	v_mul_f64 v[12:13], v[2:3], v[18:19]
	v_fma_f64 v[2:3], -v[16:17], v[12:13], v[2:3]
                                        ; implicit-def: $vgpr9
	s_nop 1
	v_div_fmas_f64 v[2:3], v[2:3], v[18:19], v[12:13]
	v_div_fixup_f64 v[12:13], v[2:3], v[14:15], 1.0
	v_mul_f64 v[2:3], v[24:25], v[4:5]
	v_fmac_f64_e32 v[2:3], v[10:11], v[22:23]
	v_mul_f64 v[10:11], v[24:25], -v[10:11]
	v_fmac_f64_e32 v[10:11], v[4:5], v[22:23]
	v_mul_f64 v[2:3], v[2:3], v[12:13]
	v_mul_f64 v[4:5], v[12:13], v[10:11]
.LBB81_21:
	s_andn2_saveexec_b64 s[18:19], s[18:19]
	s_cbranch_execz .LBB81_23
; %bb.22:
	ds_read_b128 v[2:5], v8 offset:28656
	ds_read_b128 v[10:13], v8 offset:18416
	;; [unrolled: 1-line block ×4, first 2 shown]
	s_waitcnt lgkmcnt(2)
	v_mul_f64 v[22:23], v[4:5], -v[12:13]
	v_mul_f64 v[4:5], v[4:5], v[10:11]
	v_fmac_f64_e32 v[22:23], v[10:11], v[2:3]
	s_waitcnt lgkmcnt(1)
	v_mul_f64 v[10:11], v[16:17], v[16:17]
	v_fmac_f64_e32 v[10:11], v[14:15], v[14:15]
	v_div_scale_f64 v[24:25], s[26:27], v[10:11], v[10:11], 1.0
	v_rcp_f64_e32 v[26:27], v[24:25]
	v_fmac_f64_e32 v[4:5], v[12:13], v[2:3]
	s_waitcnt lgkmcnt(0)
	v_add_f64 v[12:13], v[18:19], -v[22:23]
	v_add_f64 v[4:5], v[20:21], -v[4:5]
	v_fma_f64 v[2:3], -v[24:25], v[26:27], 1.0
	v_fmac_f64_e32 v[26:27], v[26:27], v[2:3]
	v_fma_f64 v[2:3], -v[24:25], v[26:27], 1.0
	v_fmac_f64_e32 v[26:27], v[26:27], v[2:3]
	v_div_scale_f64 v[2:3], vcc, 1.0, v[10:11], 1.0
	v_mul_f64 v[18:19], v[2:3], v[26:27]
	v_fma_f64 v[2:3], -v[24:25], v[18:19], v[2:3]
	s_nop 1
	v_div_fmas_f64 v[2:3], v[2:3], v[26:27], v[18:19]
	v_div_fixup_f64 v[10:11], v[2:3], v[10:11], 1.0
	v_mul_f64 v[2:3], v[4:5], v[16:17]
	v_fmac_f64_e32 v[2:3], v[12:13], v[14:15]
	v_mul_f64 v[12:13], v[16:17], -v[12:13]
	v_fmac_f64_e32 v[12:13], v[4:5], v[14:15]
	v_mul_f64 v[2:3], v[2:3], v[10:11]
	v_mul_f64 v[4:5], v[12:13], v[10:11]
.LBB81_23:
	s_or_b64 exec, exec, s[18:19]
	ds_write_b128 v8, v[2:5] offset:26608
.LBB81_24:
	s_or_b64 exec, exec, s[24:25]
	v_or_b32_e32 v9, 0x6000, v1
	v_or_b32_e32 v8, 0x7000, v1
	s_waitcnt lgkmcnt(0)
	s_barrier
	s_and_saveexec_b64 s[18:19], s[16:17]
	s_cbranch_execz .LBB81_30
; %bb.25:
	v_lshlrev_b32_e32 v2, 7, v0
	v_mov_b32_e32 v3, 0x8000
	v_lshl_add_u32 v11, v0, 11, v3
	v_lshlrev_b32_e32 v10, 4, v2
                                        ; implicit-def: $vgpr4_vgpr5
	s_and_saveexec_b64 s[16:17], s[12:13]
	s_xor_b64 s[16:17], exec, s[16:17]
	s_cbranch_execz .LBB81_27
; %bb.26:
	ds_read_b128 v[2:5], v10 offset:24560
	ds_read_b128 v[12:15], v10 offset:1008
	;; [unrolled: 1-line block ×6, first 2 shown]
	s_waitcnt lgkmcnt(4)
	v_mul_f64 v[32:33], v[4:5], -v[14:15]
	v_fmac_f64_e32 v[32:33], v[12:13], v[2:3]
	v_mul_f64 v[4:5], v[4:5], v[12:13]
	v_fmac_f64_e32 v[4:5], v[14:15], v[2:3]
	s_waitcnt lgkmcnt(3)
	v_add_f64 v[2:3], v[16:17], -v[32:33]
	s_waitcnt lgkmcnt(1)
	v_mul_f64 v[16:17], v[26:27], v[26:27]
	v_fmac_f64_e32 v[16:17], v[24:25], v[24:25]
	v_add_f64 v[4:5], v[18:19], -v[4:5]
	s_waitcnt lgkmcnt(0)
	v_mul_f64 v[12:13], v[30:31], -v[22:23]
	v_div_scale_f64 v[18:19], s[24:25], v[16:17], v[16:17], 1.0
	v_fmac_f64_e32 v[12:13], v[20:21], v[28:29]
	v_mul_f64 v[14:15], v[30:31], v[20:21]
	v_rcp_f64_e32 v[20:21], v[18:19]
	v_add_f64 v[12:13], v[2:3], -v[12:13]
	v_fmac_f64_e32 v[14:15], v[22:23], v[28:29]
	v_add_f64 v[4:5], v[4:5], -v[14:15]
	v_fma_f64 v[2:3], -v[18:19], v[20:21], 1.0
	v_fmac_f64_e32 v[20:21], v[20:21], v[2:3]
	v_fma_f64 v[2:3], -v[18:19], v[20:21], 1.0
	v_fmac_f64_e32 v[20:21], v[20:21], v[2:3]
	v_div_scale_f64 v[2:3], vcc, 1.0, v[16:17], 1.0
	v_mul_f64 v[14:15], v[2:3], v[20:21]
	v_fma_f64 v[2:3], -v[18:19], v[14:15], v[2:3]
                                        ; implicit-def: $vgpr11
	s_nop 1
	v_div_fmas_f64 v[2:3], v[2:3], v[20:21], v[14:15]
	v_div_fixup_f64 v[14:15], v[2:3], v[16:17], 1.0
	v_mul_f64 v[2:3], v[26:27], v[4:5]
	v_fmac_f64_e32 v[2:3], v[12:13], v[24:25]
	v_mul_f64 v[12:13], v[26:27], -v[12:13]
	v_fmac_f64_e32 v[12:13], v[4:5], v[24:25]
	v_mul_f64 v[2:3], v[2:3], v[14:15]
	v_mul_f64 v[4:5], v[14:15], v[12:13]
.LBB81_27:
	s_andn2_saveexec_b64 s[16:17], s[16:17]
	s_cbranch_execz .LBB81_29
; %bb.28:
	ds_read_b128 v[2:5], v10 offset:26608
	ds_read_b128 v[12:15], v10 offset:17392
	;; [unrolled: 1-line block ×4, first 2 shown]
	s_waitcnt lgkmcnt(2)
	v_mul_f64 v[24:25], v[4:5], -v[14:15]
	v_mul_f64 v[4:5], v[4:5], v[12:13]
	v_fmac_f64_e32 v[24:25], v[12:13], v[2:3]
	s_waitcnt lgkmcnt(1)
	v_mul_f64 v[12:13], v[18:19], v[18:19]
	v_fmac_f64_e32 v[12:13], v[16:17], v[16:17]
	v_div_scale_f64 v[26:27], s[24:25], v[12:13], v[12:13], 1.0
	v_rcp_f64_e32 v[28:29], v[26:27]
	v_fmac_f64_e32 v[4:5], v[14:15], v[2:3]
	s_waitcnt lgkmcnt(0)
	v_add_f64 v[14:15], v[20:21], -v[24:25]
	v_add_f64 v[4:5], v[22:23], -v[4:5]
	v_fma_f64 v[2:3], -v[26:27], v[28:29], 1.0
	v_fmac_f64_e32 v[28:29], v[28:29], v[2:3]
	v_fma_f64 v[2:3], -v[26:27], v[28:29], 1.0
	v_fmac_f64_e32 v[28:29], v[28:29], v[2:3]
	v_div_scale_f64 v[2:3], vcc, 1.0, v[12:13], 1.0
	v_mul_f64 v[20:21], v[2:3], v[28:29]
	v_fma_f64 v[2:3], -v[26:27], v[20:21], v[2:3]
	s_nop 1
	v_div_fmas_f64 v[2:3], v[2:3], v[28:29], v[20:21]
	v_div_fixup_f64 v[12:13], v[2:3], v[12:13], 1.0
	v_mul_f64 v[2:3], v[4:5], v[18:19]
	v_fmac_f64_e32 v[2:3], v[14:15], v[16:17]
	v_mul_f64 v[14:15], v[18:19], -v[14:15]
	v_fmac_f64_e32 v[14:15], v[4:5], v[16:17]
	v_mul_f64 v[2:3], v[2:3], v[12:13]
	v_mul_f64 v[4:5], v[14:15], v[12:13]
.LBB81_29:
	s_or_b64 exec, exec, s[16:17]
	ds_write_b128 v10, v[2:5] offset:25584
.LBB81_30:
	s_or_b64 exec, exec, s[18:19]
	s_waitcnt lgkmcnt(0)
	s_barrier
	s_and_saveexec_b64 s[16:17], s[14:15]
	s_cbranch_execz .LBB81_36
; %bb.31:
	v_lshlrev_b32_e32 v2, 6, v0
	v_mov_b32_e32 v3, 0x8000
	v_lshl_add_u32 v11, v0, 10, v3
	v_lshlrev_b32_e32 v10, 4, v2
                                        ; implicit-def: $vgpr4_vgpr5
	s_and_saveexec_b64 s[14:15], s[12:13]
	s_xor_b64 s[14:15], exec, s[14:15]
	s_cbranch_execz .LBB81_33
; %bb.32:
	ds_read_b128 v[2:5], v10 offset:24560
	ds_read_b128 v[12:15], v10 offset:496
	;; [unrolled: 1-line block ×6, first 2 shown]
	s_waitcnt lgkmcnt(4)
	v_mul_f64 v[32:33], v[4:5], -v[14:15]
	v_fmac_f64_e32 v[32:33], v[12:13], v[2:3]
	v_mul_f64 v[4:5], v[4:5], v[12:13]
	v_fmac_f64_e32 v[4:5], v[14:15], v[2:3]
	s_waitcnt lgkmcnt(3)
	v_add_f64 v[2:3], v[16:17], -v[32:33]
	s_waitcnt lgkmcnt(1)
	v_mul_f64 v[16:17], v[26:27], v[26:27]
	v_fmac_f64_e32 v[16:17], v[24:25], v[24:25]
	v_add_f64 v[4:5], v[18:19], -v[4:5]
	s_waitcnt lgkmcnt(0)
	v_mul_f64 v[12:13], v[30:31], -v[22:23]
	v_div_scale_f64 v[18:19], s[18:19], v[16:17], v[16:17], 1.0
	v_fmac_f64_e32 v[12:13], v[20:21], v[28:29]
	v_mul_f64 v[14:15], v[30:31], v[20:21]
	v_rcp_f64_e32 v[20:21], v[18:19]
	v_add_f64 v[12:13], v[2:3], -v[12:13]
	v_fmac_f64_e32 v[14:15], v[22:23], v[28:29]
	v_add_f64 v[4:5], v[4:5], -v[14:15]
	v_fma_f64 v[2:3], -v[18:19], v[20:21], 1.0
	v_fmac_f64_e32 v[20:21], v[20:21], v[2:3]
	v_fma_f64 v[2:3], -v[18:19], v[20:21], 1.0
	v_fmac_f64_e32 v[20:21], v[20:21], v[2:3]
	v_div_scale_f64 v[2:3], vcc, 1.0, v[16:17], 1.0
	v_mul_f64 v[14:15], v[2:3], v[20:21]
	v_fma_f64 v[2:3], -v[18:19], v[14:15], v[2:3]
                                        ; implicit-def: $vgpr11
	s_nop 1
	v_div_fmas_f64 v[2:3], v[2:3], v[20:21], v[14:15]
	v_div_fixup_f64 v[14:15], v[2:3], v[16:17], 1.0
	v_mul_f64 v[2:3], v[26:27], v[4:5]
	v_fmac_f64_e32 v[2:3], v[12:13], v[24:25]
	v_mul_f64 v[12:13], v[26:27], -v[12:13]
	v_fmac_f64_e32 v[12:13], v[4:5], v[24:25]
	v_mul_f64 v[2:3], v[2:3], v[14:15]
	v_mul_f64 v[4:5], v[14:15], v[12:13]
.LBB81_33:
	s_andn2_saveexec_b64 s[14:15], s[14:15]
	s_cbranch_execz .LBB81_35
; %bb.34:
	ds_read_b128 v[2:5], v10 offset:25584
	ds_read_b128 v[12:15], v10 offset:16880
	;; [unrolled: 1-line block ×4, first 2 shown]
	s_waitcnt lgkmcnt(2)
	v_mul_f64 v[24:25], v[4:5], -v[14:15]
	v_mul_f64 v[4:5], v[4:5], v[12:13]
	v_fmac_f64_e32 v[24:25], v[12:13], v[2:3]
	s_waitcnt lgkmcnt(1)
	v_mul_f64 v[12:13], v[18:19], v[18:19]
	v_fmac_f64_e32 v[12:13], v[16:17], v[16:17]
	v_div_scale_f64 v[26:27], s[18:19], v[12:13], v[12:13], 1.0
	v_rcp_f64_e32 v[28:29], v[26:27]
	v_fmac_f64_e32 v[4:5], v[14:15], v[2:3]
	s_waitcnt lgkmcnt(0)
	v_add_f64 v[14:15], v[20:21], -v[24:25]
	v_add_f64 v[4:5], v[22:23], -v[4:5]
	v_fma_f64 v[2:3], -v[26:27], v[28:29], 1.0
	v_fmac_f64_e32 v[28:29], v[28:29], v[2:3]
	v_fma_f64 v[2:3], -v[26:27], v[28:29], 1.0
	v_fmac_f64_e32 v[28:29], v[28:29], v[2:3]
	v_div_scale_f64 v[2:3], vcc, 1.0, v[12:13], 1.0
	v_mul_f64 v[20:21], v[2:3], v[28:29]
	v_fma_f64 v[2:3], -v[26:27], v[20:21], v[2:3]
	s_nop 1
	v_div_fmas_f64 v[2:3], v[2:3], v[28:29], v[20:21]
	v_div_fixup_f64 v[12:13], v[2:3], v[12:13], 1.0
	v_mul_f64 v[2:3], v[4:5], v[18:19]
	v_fmac_f64_e32 v[2:3], v[14:15], v[16:17]
	v_mul_f64 v[14:15], v[18:19], -v[14:15]
	v_fmac_f64_e32 v[14:15], v[4:5], v[16:17]
	v_mul_f64 v[2:3], v[2:3], v[12:13]
	v_mul_f64 v[4:5], v[14:15], v[12:13]
.LBB81_35:
	s_or_b64 exec, exec, s[14:15]
	ds_write_b128 v10, v[2:5] offset:25072
.LBB81_36:
	s_or_b64 exec, exec, s[16:17]
	s_waitcnt lgkmcnt(0)
	s_barrier
	s_and_saveexec_b64 s[14:15], s[10:11]
	s_cbranch_execz .LBB81_42
; %bb.37:
	v_lshlrev_b32_e32 v2, 5, v0
	v_mov_b32_e32 v3, 0x8000
	v_lshl_add_u32 v11, v0, 9, v3
	v_lshlrev_b32_e32 v10, 4, v2
                                        ; implicit-def: $vgpr4_vgpr5
	s_and_saveexec_b64 s[10:11], s[12:13]
	s_xor_b64 s[10:11], exec, s[10:11]
	s_cbranch_execz .LBB81_39
; %bb.38:
	ds_read_b128 v[2:5], v10 offset:24560
	ds_read_b128 v[12:15], v10 offset:240
	;; [unrolled: 1-line block ×6, first 2 shown]
	s_waitcnt lgkmcnt(4)
	v_mul_f64 v[32:33], v[4:5], -v[14:15]
	v_fmac_f64_e32 v[32:33], v[12:13], v[2:3]
	v_mul_f64 v[4:5], v[4:5], v[12:13]
	v_fmac_f64_e32 v[4:5], v[14:15], v[2:3]
	s_waitcnt lgkmcnt(3)
	v_add_f64 v[2:3], v[16:17], -v[32:33]
	s_waitcnt lgkmcnt(1)
	v_mul_f64 v[16:17], v[26:27], v[26:27]
	v_fmac_f64_e32 v[16:17], v[24:25], v[24:25]
	v_add_f64 v[4:5], v[18:19], -v[4:5]
	s_waitcnt lgkmcnt(0)
	v_mul_f64 v[12:13], v[30:31], -v[22:23]
	v_div_scale_f64 v[18:19], s[16:17], v[16:17], v[16:17], 1.0
	v_fmac_f64_e32 v[12:13], v[20:21], v[28:29]
	v_mul_f64 v[14:15], v[30:31], v[20:21]
	v_rcp_f64_e32 v[20:21], v[18:19]
	v_add_f64 v[12:13], v[2:3], -v[12:13]
	v_fmac_f64_e32 v[14:15], v[22:23], v[28:29]
	v_add_f64 v[4:5], v[4:5], -v[14:15]
	v_fma_f64 v[2:3], -v[18:19], v[20:21], 1.0
	v_fmac_f64_e32 v[20:21], v[20:21], v[2:3]
	v_fma_f64 v[2:3], -v[18:19], v[20:21], 1.0
	v_fmac_f64_e32 v[20:21], v[20:21], v[2:3]
	v_div_scale_f64 v[2:3], vcc, 1.0, v[16:17], 1.0
	v_mul_f64 v[14:15], v[2:3], v[20:21]
	v_fma_f64 v[2:3], -v[18:19], v[14:15], v[2:3]
                                        ; implicit-def: $vgpr11
	s_nop 1
	v_div_fmas_f64 v[2:3], v[2:3], v[20:21], v[14:15]
	v_div_fixup_f64 v[14:15], v[2:3], v[16:17], 1.0
	v_mul_f64 v[2:3], v[26:27], v[4:5]
	v_fmac_f64_e32 v[2:3], v[12:13], v[24:25]
	v_mul_f64 v[12:13], v[26:27], -v[12:13]
	v_fmac_f64_e32 v[12:13], v[4:5], v[24:25]
	v_mul_f64 v[2:3], v[2:3], v[14:15]
	v_mul_f64 v[4:5], v[14:15], v[12:13]
.LBB81_39:
	s_andn2_saveexec_b64 s[10:11], s[10:11]
	s_cbranch_execz .LBB81_41
; %bb.40:
	ds_read_b128 v[2:5], v10 offset:25072
	ds_read_b128 v[12:15], v10 offset:16624
	;; [unrolled: 1-line block ×4, first 2 shown]
	s_waitcnt lgkmcnt(2)
	v_mul_f64 v[24:25], v[4:5], -v[14:15]
	v_mul_f64 v[4:5], v[4:5], v[12:13]
	v_fmac_f64_e32 v[24:25], v[12:13], v[2:3]
	s_waitcnt lgkmcnt(1)
	v_mul_f64 v[12:13], v[18:19], v[18:19]
	v_fmac_f64_e32 v[12:13], v[16:17], v[16:17]
	v_div_scale_f64 v[26:27], s[16:17], v[12:13], v[12:13], 1.0
	v_rcp_f64_e32 v[28:29], v[26:27]
	v_fmac_f64_e32 v[4:5], v[14:15], v[2:3]
	s_waitcnt lgkmcnt(0)
	v_add_f64 v[14:15], v[20:21], -v[24:25]
	v_add_f64 v[4:5], v[22:23], -v[4:5]
	v_fma_f64 v[2:3], -v[26:27], v[28:29], 1.0
	v_fmac_f64_e32 v[28:29], v[28:29], v[2:3]
	v_fma_f64 v[2:3], -v[26:27], v[28:29], 1.0
	v_fmac_f64_e32 v[28:29], v[28:29], v[2:3]
	v_div_scale_f64 v[2:3], vcc, 1.0, v[12:13], 1.0
	v_mul_f64 v[20:21], v[2:3], v[28:29]
	v_fma_f64 v[2:3], -v[26:27], v[20:21], v[2:3]
	s_nop 1
	v_div_fmas_f64 v[2:3], v[2:3], v[28:29], v[20:21]
	v_div_fixup_f64 v[12:13], v[2:3], v[12:13], 1.0
	v_mul_f64 v[2:3], v[4:5], v[18:19]
	v_fmac_f64_e32 v[2:3], v[14:15], v[16:17]
	v_mul_f64 v[14:15], v[18:19], -v[14:15]
	v_fmac_f64_e32 v[14:15], v[4:5], v[16:17]
	v_mul_f64 v[2:3], v[2:3], v[12:13]
	v_mul_f64 v[4:5], v[14:15], v[12:13]
.LBB81_41:
	s_or_b64 exec, exec, s[10:11]
	ds_write_b128 v10, v[2:5] offset:24816
.LBB81_42:
	s_or_b64 exec, exec, s[14:15]
	s_waitcnt lgkmcnt(0)
	s_barrier
	s_and_saveexec_b64 s[10:11], s[8:9]
	s_cbranch_execz .LBB81_48
; %bb.43:
	v_mov_b32_e32 v2, 0x8000
	v_lshl_add_u32 v10, v0, 8, v2
	v_lshlrev_b32_e32 v1, 4, v1
                                        ; implicit-def: $vgpr4_vgpr5
	s_and_saveexec_b64 s[8:9], s[12:13]
	s_xor_b64 s[8:9], exec, s[8:9]
	s_cbranch_execz .LBB81_45
; %bb.44:
	ds_read_b128 v[2:5], v1 offset:24560
	ds_read_b128 v[12:15], v1 offset:112
	;; [unrolled: 1-line block ×6, first 2 shown]
	s_waitcnt lgkmcnt(4)
	v_mul_f64 v[10:11], v[4:5], -v[14:15]
	v_mul_f64 v[4:5], v[4:5], v[12:13]
	v_fmac_f64_e32 v[4:5], v[14:15], v[2:3]
	s_waitcnt lgkmcnt(1)
	v_mul_f64 v[14:15], v[26:27], v[26:27]
	v_fmac_f64_e32 v[10:11], v[12:13], v[2:3]
	v_fmac_f64_e32 v[14:15], v[24:25], v[24:25]
	v_add_f64 v[2:3], v[16:17], -v[10:11]
	v_div_scale_f64 v[16:17], s[14:15], v[14:15], v[14:15], 1.0
	v_add_f64 v[4:5], v[18:19], -v[4:5]
	v_rcp_f64_e32 v[18:19], v[16:17]
	s_waitcnt lgkmcnt(0)
	v_mul_f64 v[10:11], v[30:31], -v[22:23]
	v_fmac_f64_e32 v[10:11], v[20:21], v[28:29]
	v_add_f64 v[10:11], v[2:3], -v[10:11]
	v_fma_f64 v[2:3], -v[16:17], v[18:19], 1.0
	v_fmac_f64_e32 v[18:19], v[18:19], v[2:3]
	v_mul_f64 v[12:13], v[30:31], v[20:21]
	v_fma_f64 v[2:3], -v[16:17], v[18:19], 1.0
	v_fmac_f64_e32 v[12:13], v[22:23], v[28:29]
	v_fmac_f64_e32 v[18:19], v[18:19], v[2:3]
	v_div_scale_f64 v[2:3], vcc, 1.0, v[14:15], 1.0
	v_add_f64 v[4:5], v[4:5], -v[12:13]
	v_mul_f64 v[12:13], v[2:3], v[18:19]
	v_fma_f64 v[2:3], -v[16:17], v[12:13], v[2:3]
	s_nop 0
	v_div_fmas_f64 v[2:3], v[2:3], v[18:19], v[12:13]
	v_div_fixup_f64 v[12:13], v[2:3], v[14:15], 1.0
	v_mul_f64 v[2:3], v[26:27], v[4:5]
	v_fmac_f64_e32 v[2:3], v[10:11], v[24:25]
	v_mul_f64 v[10:11], v[26:27], -v[10:11]
	v_fmac_f64_e32 v[10:11], v[4:5], v[24:25]
	v_mul_f64 v[2:3], v[2:3], v[12:13]
	v_mul_f64 v[4:5], v[12:13], v[10:11]
                                        ; implicit-def: $vgpr10
.LBB81_45:
	s_andn2_saveexec_b64 s[8:9], s[8:9]
	s_cbranch_execz .LBB81_47
; %bb.46:
	ds_read_b128 v[2:5], v1 offset:24816
	ds_read_b128 v[12:15], v1 offset:16496
	;; [unrolled: 1-line block ×4, first 2 shown]
	s_waitcnt lgkmcnt(2)
	v_mul_f64 v[10:11], v[4:5], -v[14:15]
	v_mul_f64 v[4:5], v[4:5], v[12:13]
	v_fmac_f64_e32 v[10:11], v[12:13], v[2:3]
	s_waitcnt lgkmcnt(1)
	v_mul_f64 v[12:13], v[18:19], v[18:19]
	v_fmac_f64_e32 v[12:13], v[16:17], v[16:17]
	v_div_scale_f64 v[24:25], s[14:15], v[12:13], v[12:13], 1.0
	v_rcp_f64_e32 v[26:27], v[24:25]
	v_fmac_f64_e32 v[4:5], v[14:15], v[2:3]
	s_waitcnt lgkmcnt(0)
	v_add_f64 v[4:5], v[22:23], -v[4:5]
	v_add_f64 v[10:11], v[20:21], -v[10:11]
	v_fma_f64 v[2:3], -v[24:25], v[26:27], 1.0
	v_fmac_f64_e32 v[26:27], v[26:27], v[2:3]
	v_fma_f64 v[2:3], -v[24:25], v[26:27], 1.0
	v_fmac_f64_e32 v[26:27], v[26:27], v[2:3]
	v_div_scale_f64 v[2:3], vcc, 1.0, v[12:13], 1.0
	v_mul_f64 v[14:15], v[2:3], v[26:27]
	v_fma_f64 v[2:3], -v[24:25], v[14:15], v[2:3]
	s_nop 1
	v_div_fmas_f64 v[2:3], v[2:3], v[26:27], v[14:15]
	v_div_fixup_f64 v[12:13], v[2:3], v[12:13], 1.0
	v_mul_f64 v[2:3], v[4:5], v[18:19]
	v_fmac_f64_e32 v[2:3], v[10:11], v[16:17]
	v_mul_f64 v[10:11], v[18:19], -v[10:11]
	v_fmac_f64_e32 v[10:11], v[4:5], v[16:17]
	v_mul_f64 v[2:3], v[2:3], v[12:13]
	v_mul_f64 v[4:5], v[10:11], v[12:13]
.LBB81_47:
	s_or_b64 exec, exec, s[8:9]
	ds_write_b128 v1, v[2:5] offset:24688
.LBB81_48:
	s_or_b64 exec, exec, s[10:11]
	s_waitcnt lgkmcnt(0)
	s_barrier
	s_and_saveexec_b64 s[8:9], s[6:7]
	s_cbranch_execz .LBB81_54
; %bb.49:
	v_lshlrev_b32_e32 v1, 3, v0
	v_mov_b32_e32 v2, 0x8000
	v_lshl_or_b32 v10, v0, 7, v2
	v_lshlrev_b32_e32 v1, 4, v1
                                        ; implicit-def: $vgpr4_vgpr5
	s_and_saveexec_b64 s[6:7], s[12:13]
	s_xor_b64 s[6:7], exec, s[6:7]
	s_cbranch_execz .LBB81_51
; %bb.50:
	ds_read_b128 v[2:5], v1 offset:24560
	ds_read_b128 v[12:15], v1 offset:48
	;; [unrolled: 1-line block ×6, first 2 shown]
	s_waitcnt lgkmcnt(4)
	v_mul_f64 v[10:11], v[4:5], -v[14:15]
	v_mul_f64 v[4:5], v[4:5], v[12:13]
	v_fmac_f64_e32 v[4:5], v[14:15], v[2:3]
	s_waitcnt lgkmcnt(1)
	v_mul_f64 v[14:15], v[26:27], v[26:27]
	v_fmac_f64_e32 v[10:11], v[12:13], v[2:3]
	v_fmac_f64_e32 v[14:15], v[24:25], v[24:25]
	v_add_f64 v[2:3], v[16:17], -v[10:11]
	v_div_scale_f64 v[16:17], s[10:11], v[14:15], v[14:15], 1.0
	v_add_f64 v[4:5], v[18:19], -v[4:5]
	v_rcp_f64_e32 v[18:19], v[16:17]
	s_waitcnt lgkmcnt(0)
	v_mul_f64 v[10:11], v[30:31], -v[22:23]
	v_fmac_f64_e32 v[10:11], v[20:21], v[28:29]
	v_add_f64 v[10:11], v[2:3], -v[10:11]
	v_fma_f64 v[2:3], -v[16:17], v[18:19], 1.0
	v_fmac_f64_e32 v[18:19], v[18:19], v[2:3]
	v_mul_f64 v[12:13], v[30:31], v[20:21]
	v_fma_f64 v[2:3], -v[16:17], v[18:19], 1.0
	v_fmac_f64_e32 v[12:13], v[22:23], v[28:29]
	v_fmac_f64_e32 v[18:19], v[18:19], v[2:3]
	v_div_scale_f64 v[2:3], vcc, 1.0, v[14:15], 1.0
	v_add_f64 v[4:5], v[4:5], -v[12:13]
	v_mul_f64 v[12:13], v[2:3], v[18:19]
	v_fma_f64 v[2:3], -v[16:17], v[12:13], v[2:3]
	s_nop 0
	v_div_fmas_f64 v[2:3], v[2:3], v[18:19], v[12:13]
	v_div_fixup_f64 v[12:13], v[2:3], v[14:15], 1.0
	v_mul_f64 v[2:3], v[26:27], v[4:5]
	v_fmac_f64_e32 v[2:3], v[10:11], v[24:25]
	v_mul_f64 v[10:11], v[26:27], -v[10:11]
	v_fmac_f64_e32 v[10:11], v[4:5], v[24:25]
	v_mul_f64 v[2:3], v[2:3], v[12:13]
	v_mul_f64 v[4:5], v[12:13], v[10:11]
                                        ; implicit-def: $vgpr10
.LBB81_51:
	s_andn2_saveexec_b64 s[6:7], s[6:7]
	s_cbranch_execz .LBB81_53
; %bb.52:
	ds_read_b128 v[2:5], v1 offset:24688
	ds_read_b128 v[12:15], v1 offset:16432
	;; [unrolled: 1-line block ×4, first 2 shown]
	s_waitcnt lgkmcnt(2)
	v_mul_f64 v[10:11], v[4:5], -v[14:15]
	v_mul_f64 v[4:5], v[4:5], v[12:13]
	v_fmac_f64_e32 v[10:11], v[12:13], v[2:3]
	s_waitcnt lgkmcnt(1)
	v_mul_f64 v[12:13], v[18:19], v[18:19]
	v_fmac_f64_e32 v[12:13], v[16:17], v[16:17]
	v_div_scale_f64 v[24:25], s[10:11], v[12:13], v[12:13], 1.0
	v_rcp_f64_e32 v[26:27], v[24:25]
	v_fmac_f64_e32 v[4:5], v[14:15], v[2:3]
	s_waitcnt lgkmcnt(0)
	v_add_f64 v[4:5], v[22:23], -v[4:5]
	v_add_f64 v[10:11], v[20:21], -v[10:11]
	v_fma_f64 v[2:3], -v[24:25], v[26:27], 1.0
	v_fmac_f64_e32 v[26:27], v[26:27], v[2:3]
	v_fma_f64 v[2:3], -v[24:25], v[26:27], 1.0
	v_fmac_f64_e32 v[26:27], v[26:27], v[2:3]
	v_div_scale_f64 v[2:3], vcc, 1.0, v[12:13], 1.0
	v_mul_f64 v[14:15], v[2:3], v[26:27]
	v_fma_f64 v[2:3], -v[24:25], v[14:15], v[2:3]
	s_nop 1
	v_div_fmas_f64 v[2:3], v[2:3], v[26:27], v[14:15]
	v_div_fixup_f64 v[12:13], v[2:3], v[12:13], 1.0
	v_mul_f64 v[2:3], v[4:5], v[18:19]
	v_fmac_f64_e32 v[2:3], v[10:11], v[16:17]
	v_mul_f64 v[10:11], v[18:19], -v[10:11]
	v_fmac_f64_e32 v[10:11], v[4:5], v[16:17]
	v_mul_f64 v[2:3], v[2:3], v[12:13]
	v_mul_f64 v[4:5], v[10:11], v[12:13]
.LBB81_53:
	s_or_b64 exec, exec, s[6:7]
	ds_write_b128 v1, v[2:5] offset:24624
.LBB81_54:
	s_or_b64 exec, exec, s[8:9]
	s_waitcnt lgkmcnt(0)
	s_barrier
	s_and_saveexec_b64 s[6:7], s[4:5]
	s_cbranch_execz .LBB81_60
; %bb.55:
	v_lshlrev_b32_e32 v1, 2, v0
	v_mov_b32_e32 v2, 0x8000
	v_lshl_or_b32 v10, v0, 6, v2
	v_lshlrev_b32_e32 v1, 4, v1
                                        ; implicit-def: $vgpr4_vgpr5
	s_and_saveexec_b64 s[4:5], s[12:13]
	s_xor_b64 s[4:5], exec, s[4:5]
	s_cbranch_execz .LBB81_57
; %bb.56:
	ds_read_b128 v[2:5], v1 offset:24560
	ds_read_b128 v[12:15], v1 offset:16
	;; [unrolled: 1-line block ×6, first 2 shown]
	s_waitcnt lgkmcnt(4)
	v_mul_f64 v[10:11], v[4:5], -v[14:15]
	v_mul_f64 v[4:5], v[4:5], v[12:13]
	v_fmac_f64_e32 v[4:5], v[14:15], v[2:3]
	s_waitcnt lgkmcnt(1)
	v_mul_f64 v[14:15], v[26:27], v[26:27]
	v_fmac_f64_e32 v[10:11], v[12:13], v[2:3]
	v_fmac_f64_e32 v[14:15], v[24:25], v[24:25]
	v_add_f64 v[2:3], v[16:17], -v[10:11]
	v_div_scale_f64 v[16:17], s[8:9], v[14:15], v[14:15], 1.0
	v_add_f64 v[4:5], v[18:19], -v[4:5]
	v_rcp_f64_e32 v[18:19], v[16:17]
	s_waitcnt lgkmcnt(0)
	v_mul_f64 v[10:11], v[30:31], -v[22:23]
	v_fmac_f64_e32 v[10:11], v[20:21], v[28:29]
	v_add_f64 v[10:11], v[2:3], -v[10:11]
	v_fma_f64 v[2:3], -v[16:17], v[18:19], 1.0
	v_fmac_f64_e32 v[18:19], v[18:19], v[2:3]
	v_mul_f64 v[12:13], v[30:31], v[20:21]
	v_fma_f64 v[2:3], -v[16:17], v[18:19], 1.0
	v_fmac_f64_e32 v[12:13], v[22:23], v[28:29]
	v_fmac_f64_e32 v[18:19], v[18:19], v[2:3]
	v_div_scale_f64 v[2:3], vcc, 1.0, v[14:15], 1.0
	v_add_f64 v[4:5], v[4:5], -v[12:13]
	v_mul_f64 v[12:13], v[2:3], v[18:19]
	v_fma_f64 v[2:3], -v[16:17], v[12:13], v[2:3]
	s_nop 0
	v_div_fmas_f64 v[2:3], v[2:3], v[18:19], v[12:13]
	v_div_fixup_f64 v[12:13], v[2:3], v[14:15], 1.0
	v_mul_f64 v[2:3], v[26:27], v[4:5]
	v_fmac_f64_e32 v[2:3], v[10:11], v[24:25]
	v_mul_f64 v[10:11], v[26:27], -v[10:11]
	v_fmac_f64_e32 v[10:11], v[4:5], v[24:25]
	v_mul_f64 v[2:3], v[2:3], v[12:13]
	v_mul_f64 v[4:5], v[12:13], v[10:11]
                                        ; implicit-def: $vgpr10
.LBB81_57:
	s_andn2_saveexec_b64 s[4:5], s[4:5]
	s_cbranch_execz .LBB81_59
; %bb.58:
	ds_read_b128 v[2:5], v1 offset:24624
	ds_read_b128 v[12:15], v1 offset:16400
	;; [unrolled: 1-line block ×4, first 2 shown]
	s_waitcnt lgkmcnt(2)
	v_mul_f64 v[10:11], v[4:5], -v[14:15]
	v_mul_f64 v[4:5], v[4:5], v[12:13]
	v_fmac_f64_e32 v[10:11], v[12:13], v[2:3]
	s_waitcnt lgkmcnt(1)
	v_mul_f64 v[12:13], v[18:19], v[18:19]
	v_fmac_f64_e32 v[12:13], v[16:17], v[16:17]
	v_div_scale_f64 v[24:25], s[8:9], v[12:13], v[12:13], 1.0
	v_rcp_f64_e32 v[26:27], v[24:25]
	v_fmac_f64_e32 v[4:5], v[14:15], v[2:3]
	s_waitcnt lgkmcnt(0)
	v_add_f64 v[4:5], v[22:23], -v[4:5]
	v_add_f64 v[10:11], v[20:21], -v[10:11]
	v_fma_f64 v[2:3], -v[24:25], v[26:27], 1.0
	v_fmac_f64_e32 v[26:27], v[26:27], v[2:3]
	v_fma_f64 v[2:3], -v[24:25], v[26:27], 1.0
	v_fmac_f64_e32 v[26:27], v[26:27], v[2:3]
	v_div_scale_f64 v[2:3], vcc, 1.0, v[12:13], 1.0
	v_mul_f64 v[14:15], v[2:3], v[26:27]
	v_fma_f64 v[2:3], -v[24:25], v[14:15], v[2:3]
	s_nop 1
	v_div_fmas_f64 v[2:3], v[2:3], v[26:27], v[14:15]
	v_div_fixup_f64 v[12:13], v[2:3], v[12:13], 1.0
	v_mul_f64 v[2:3], v[4:5], v[18:19]
	v_fmac_f64_e32 v[2:3], v[10:11], v[16:17]
	v_mul_f64 v[10:11], v[18:19], -v[10:11]
	v_fmac_f64_e32 v[10:11], v[4:5], v[16:17]
	v_mul_f64 v[2:3], v[2:3], v[12:13]
	v_mul_f64 v[4:5], v[10:11], v[12:13]
.LBB81_59:
	s_or_b64 exec, exec, s[4:5]
	ds_write_b128 v1, v[2:5] offset:24592
.LBB81_60:
	s_or_b64 exec, exec, s[6:7]
	s_waitcnt lgkmcnt(0)
	s_barrier
	s_and_saveexec_b64 s[4:5], s[20:21]
	s_cbranch_execz .LBB81_66
; %bb.61:
	v_lshlrev_b32_e32 v1, 1, v0
	v_mov_b32_e32 v2, 0x8000
	v_lshl_or_b32 v5, v0, 5, v2
	v_lshlrev_b32_e32 v4, 4, v1
                                        ; implicit-def: $vgpr2_vgpr3
	s_and_saveexec_b64 s[6:7], s[12:13]
	s_xor_b64 s[6:7], exec, s[6:7]
	s_cbranch_execz .LBB81_63
; %bb.62:
	ds_read_b128 v[0:3], v4 offset:24560
	ds_read_b128 v[10:13], v4
	ds_read_b128 v[14:17], v5
	ds_read_b128 v[18:21], v4 offset:16384
	ds_read_b128 v[22:25], v4 offset:8192
	;; [unrolled: 1-line block ×3, first 2 shown]
	s_waitcnt lgkmcnt(4)
	v_mul_f64 v[30:31], v[2:3], -v[12:13]
	v_fmac_f64_e32 v[30:31], v[10:11], v[0:1]
	v_mul_f64 v[2:3], v[2:3], v[10:11]
	v_fmac_f64_e32 v[2:3], v[12:13], v[0:1]
	s_waitcnt lgkmcnt(3)
	v_add_f64 v[0:1], v[14:15], -v[30:31]
	s_waitcnt lgkmcnt(1)
	v_mul_f64 v[14:15], v[24:25], v[24:25]
	v_fmac_f64_e32 v[14:15], v[22:23], v[22:23]
	v_add_f64 v[2:3], v[16:17], -v[2:3]
	s_waitcnt lgkmcnt(0)
	v_mul_f64 v[10:11], v[28:29], -v[20:21]
	v_div_scale_f64 v[16:17], s[8:9], v[14:15], v[14:15], 1.0
	v_fmac_f64_e32 v[10:11], v[18:19], v[26:27]
	v_mul_f64 v[12:13], v[28:29], v[18:19]
	v_rcp_f64_e32 v[18:19], v[16:17]
	v_add_f64 v[10:11], v[0:1], -v[10:11]
	v_fmac_f64_e32 v[12:13], v[20:21], v[26:27]
	v_add_f64 v[2:3], v[2:3], -v[12:13]
	v_fma_f64 v[0:1], -v[16:17], v[18:19], 1.0
	v_fmac_f64_e32 v[18:19], v[18:19], v[0:1]
	v_fma_f64 v[0:1], -v[16:17], v[18:19], 1.0
	v_fmac_f64_e32 v[18:19], v[18:19], v[0:1]
	v_div_scale_f64 v[0:1], vcc, 1.0, v[14:15], 1.0
	v_mul_f64 v[12:13], v[0:1], v[18:19]
	v_fma_f64 v[0:1], -v[16:17], v[12:13], v[0:1]
                                        ; implicit-def: $vgpr5
	s_nop 1
	v_div_fmas_f64 v[0:1], v[0:1], v[18:19], v[12:13]
	v_div_fixup_f64 v[12:13], v[0:1], v[14:15], 1.0
	v_mul_f64 v[0:1], v[24:25], v[2:3]
	v_fmac_f64_e32 v[0:1], v[10:11], v[22:23]
	v_mul_f64 v[10:11], v[24:25], -v[10:11]
	v_fmac_f64_e32 v[10:11], v[2:3], v[22:23]
	v_mul_f64 v[0:1], v[0:1], v[12:13]
	v_mul_f64 v[2:3], v[12:13], v[10:11]
.LBB81_63:
	s_andn2_saveexec_b64 s[6:7], s[6:7]
	s_cbranch_execz .LBB81_65
; %bb.64:
	ds_read_b128 v[0:3], v4 offset:24592
	ds_read_b128 v[10:13], v4 offset:16384
	;; [unrolled: 1-line block ×3, first 2 shown]
	ds_read_b128 v[18:21], v5
	s_waitcnt lgkmcnt(2)
	v_mul_f64 v[22:23], v[2:3], -v[12:13]
	v_mul_f64 v[2:3], v[2:3], v[10:11]
	v_fmac_f64_e32 v[22:23], v[10:11], v[0:1]
	s_waitcnt lgkmcnt(1)
	v_mul_f64 v[10:11], v[16:17], v[16:17]
	v_fmac_f64_e32 v[10:11], v[14:15], v[14:15]
	v_div_scale_f64 v[24:25], s[8:9], v[10:11], v[10:11], 1.0
	v_rcp_f64_e32 v[26:27], v[24:25]
	v_fmac_f64_e32 v[2:3], v[12:13], v[0:1]
	s_waitcnt lgkmcnt(0)
	v_add_f64 v[12:13], v[18:19], -v[22:23]
	v_add_f64 v[2:3], v[20:21], -v[2:3]
	v_fma_f64 v[0:1], -v[24:25], v[26:27], 1.0
	v_fmac_f64_e32 v[26:27], v[26:27], v[0:1]
	v_fma_f64 v[0:1], -v[24:25], v[26:27], 1.0
	v_fmac_f64_e32 v[26:27], v[26:27], v[0:1]
	v_div_scale_f64 v[0:1], vcc, 1.0, v[10:11], 1.0
	v_mul_f64 v[18:19], v[0:1], v[26:27]
	v_fma_f64 v[0:1], -v[24:25], v[18:19], v[0:1]
	s_nop 1
	v_div_fmas_f64 v[0:1], v[0:1], v[26:27], v[18:19]
	v_div_fixup_f64 v[10:11], v[0:1], v[10:11], 1.0
	v_mul_f64 v[0:1], v[2:3], v[16:17]
	v_fmac_f64_e32 v[0:1], v[12:13], v[14:15]
	v_mul_f64 v[12:13], v[16:17], -v[12:13]
	v_fmac_f64_e32 v[12:13], v[2:3], v[14:15]
	v_mul_f64 v[0:1], v[0:1], v[10:11]
	v_mul_f64 v[2:3], v[12:13], v[10:11]
.LBB81_65:
	s_or_b64 exec, exec, s[6:7]
	ds_write_b128 v4, v[0:3] offset:24576
.LBB81_66:
	s_or_b64 exec, exec, s[4:5]
	s_load_dword s0, s[0:1], 0x8
	s_waitcnt lgkmcnt(0)
	s_barrier
	ds_read2_b64 v[0:3], v9 offset1:1
	ds_read2_b64 v[8:11], v8 offset1:1
	s_mul_i32 s0, s0, s3
	v_add_u32_e32 v4, s0, v6
	v_mov_b32_e32 v5, 0
	v_lshl_add_u64 v[12:13], v[4:5], 4, s[22:23]
	v_add_u32_e32 v4, s0, v7
	s_waitcnt lgkmcnt(1)
	global_store_dwordx4 v[12:13], v[0:3], off
	s_nop 1
	v_lshl_add_u64 v[0:1], v[4:5], 4, s[22:23]
	s_waitcnt lgkmcnt(0)
	global_store_dwordx4 v[0:1], v[8:11], off
	s_endpgm
	.section	.rodata,"a",@progbits
	.p2align	6, 0x0
	.amdhsa_kernel _ZN9rocsparseL48gtsv_nopivot_strided_batch_cr_pow2_stage2_kernelILj256E21rocsparse_complex_numIdEEEviiiPKT0_S5_S5_S5_PS3_
		.amdhsa_group_segment_fixed_size 40960
		.amdhsa_private_segment_fixed_size 0
		.amdhsa_kernarg_size 312
		.amdhsa_user_sgpr_count 2
		.amdhsa_user_sgpr_dispatch_ptr 0
		.amdhsa_user_sgpr_queue_ptr 0
		.amdhsa_user_sgpr_kernarg_segment_ptr 1
		.amdhsa_user_sgpr_dispatch_id 0
		.amdhsa_user_sgpr_kernarg_preload_length 0
		.amdhsa_user_sgpr_kernarg_preload_offset 0
		.amdhsa_user_sgpr_private_segment_size 0
		.amdhsa_uses_dynamic_stack 0
		.amdhsa_enable_private_segment 0
		.amdhsa_system_sgpr_workgroup_id_x 1
		.amdhsa_system_sgpr_workgroup_id_y 1
		.amdhsa_system_sgpr_workgroup_id_z 0
		.amdhsa_system_sgpr_workgroup_info 0
		.amdhsa_system_vgpr_workitem_id 0
		.amdhsa_next_free_vgpr 97
		.amdhsa_next_free_sgpr 96
		.amdhsa_accum_offset 48
		.amdhsa_reserve_vcc 1
		.amdhsa_float_round_mode_32 0
		.amdhsa_float_round_mode_16_64 0
		.amdhsa_float_denorm_mode_32 3
		.amdhsa_float_denorm_mode_16_64 3
		.amdhsa_dx10_clamp 1
		.amdhsa_ieee_mode 1
		.amdhsa_fp16_overflow 0
		.amdhsa_tg_split 0
		.amdhsa_exception_fp_ieee_invalid_op 0
		.amdhsa_exception_fp_denorm_src 0
		.amdhsa_exception_fp_ieee_div_zero 0
		.amdhsa_exception_fp_ieee_overflow 0
		.amdhsa_exception_fp_ieee_underflow 0
		.amdhsa_exception_fp_ieee_inexact 0
		.amdhsa_exception_int_div_zero 0
	.end_amdhsa_kernel
	.section	.text._ZN9rocsparseL48gtsv_nopivot_strided_batch_cr_pow2_stage2_kernelILj256E21rocsparse_complex_numIdEEEviiiPKT0_S5_S5_S5_PS3_,"axG",@progbits,_ZN9rocsparseL48gtsv_nopivot_strided_batch_cr_pow2_stage2_kernelILj256E21rocsparse_complex_numIdEEEviiiPKT0_S5_S5_S5_PS3_,comdat
.Lfunc_end81:
	.size	_ZN9rocsparseL48gtsv_nopivot_strided_batch_cr_pow2_stage2_kernelILj256E21rocsparse_complex_numIdEEEviiiPKT0_S5_S5_S5_PS3_, .Lfunc_end81-_ZN9rocsparseL48gtsv_nopivot_strided_batch_cr_pow2_stage2_kernelILj256E21rocsparse_complex_numIdEEEviiiPKT0_S5_S5_S5_PS3_
                                        ; -- End function
	.set _ZN9rocsparseL48gtsv_nopivot_strided_batch_cr_pow2_stage2_kernelILj256E21rocsparse_complex_numIdEEEviiiPKT0_S5_S5_S5_PS3_.num_vgpr, 48
	.set _ZN9rocsparseL48gtsv_nopivot_strided_batch_cr_pow2_stage2_kernelILj256E21rocsparse_complex_numIdEEEviiiPKT0_S5_S5_S5_PS3_.num_agpr, 0
	.set _ZN9rocsparseL48gtsv_nopivot_strided_batch_cr_pow2_stage2_kernelILj256E21rocsparse_complex_numIdEEEviiiPKT0_S5_S5_S5_PS3_.numbered_sgpr, 28
	.set _ZN9rocsparseL48gtsv_nopivot_strided_batch_cr_pow2_stage2_kernelILj256E21rocsparse_complex_numIdEEEviiiPKT0_S5_S5_S5_PS3_.num_named_barrier, 0
	.set _ZN9rocsparseL48gtsv_nopivot_strided_batch_cr_pow2_stage2_kernelILj256E21rocsparse_complex_numIdEEEviiiPKT0_S5_S5_S5_PS3_.private_seg_size, 0
	.set _ZN9rocsparseL48gtsv_nopivot_strided_batch_cr_pow2_stage2_kernelILj256E21rocsparse_complex_numIdEEEviiiPKT0_S5_S5_S5_PS3_.uses_vcc, 1
	.set _ZN9rocsparseL48gtsv_nopivot_strided_batch_cr_pow2_stage2_kernelILj256E21rocsparse_complex_numIdEEEviiiPKT0_S5_S5_S5_PS3_.uses_flat_scratch, 0
	.set _ZN9rocsparseL48gtsv_nopivot_strided_batch_cr_pow2_stage2_kernelILj256E21rocsparse_complex_numIdEEEviiiPKT0_S5_S5_S5_PS3_.has_dyn_sized_stack, 0
	.set _ZN9rocsparseL48gtsv_nopivot_strided_batch_cr_pow2_stage2_kernelILj256E21rocsparse_complex_numIdEEEviiiPKT0_S5_S5_S5_PS3_.has_recursion, 0
	.set _ZN9rocsparseL48gtsv_nopivot_strided_batch_cr_pow2_stage2_kernelILj256E21rocsparse_complex_numIdEEEviiiPKT0_S5_S5_S5_PS3_.has_indirect_call, 0
	.section	.AMDGPU.csdata,"",@progbits
; Kernel info:
; codeLenInByte = 11240
; TotalNumSgprs: 34
; NumVgprs: 48
; NumAgprs: 0
; TotalNumVgprs: 48
; ScratchSize: 0
; MemoryBound: 0
; FloatMode: 240
; IeeeMode: 1
; LDSByteSize: 40960 bytes/workgroup (compile time only)
; SGPRBlocks: 12
; VGPRBlocks: 12
; NumSGPRsForWavesPerEU: 102
; NumVGPRsForWavesPerEU: 97
; AccumOffset: 48
; Occupancy: 4
; WaveLimiterHint : 0
; COMPUTE_PGM_RSRC2:SCRATCH_EN: 0
; COMPUTE_PGM_RSRC2:USER_SGPR: 2
; COMPUTE_PGM_RSRC2:TRAP_HANDLER: 0
; COMPUTE_PGM_RSRC2:TGID_X_EN: 1
; COMPUTE_PGM_RSRC2:TGID_Y_EN: 1
; COMPUTE_PGM_RSRC2:TGID_Z_EN: 0
; COMPUTE_PGM_RSRC2:TIDIG_COMP_CNT: 0
; COMPUTE_PGM_RSRC3_GFX90A:ACCUM_OFFSET: 11
; COMPUTE_PGM_RSRC3_GFX90A:TG_SPLIT: 0
	.section	.text._ZN9rocsparseL44gtsv_nopivot_strided_batch_pcr_stage1_kernelILj256E21rocsparse_complex_numIdEEEviiiiPKT0_S5_S5_S5_PS3_S6_S6_S6_,"axG",@progbits,_ZN9rocsparseL44gtsv_nopivot_strided_batch_pcr_stage1_kernelILj256E21rocsparse_complex_numIdEEEviiiiPKT0_S5_S5_S5_PS3_S6_S6_S6_,comdat
	.globl	_ZN9rocsparseL44gtsv_nopivot_strided_batch_pcr_stage1_kernelILj256E21rocsparse_complex_numIdEEEviiiiPKT0_S5_S5_S5_PS3_S6_S6_S6_ ; -- Begin function _ZN9rocsparseL44gtsv_nopivot_strided_batch_pcr_stage1_kernelILj256E21rocsparse_complex_numIdEEEviiiiPKT0_S5_S5_S5_PS3_S6_S6_S6_
	.p2align	8
	.type	_ZN9rocsparseL44gtsv_nopivot_strided_batch_pcr_stage1_kernelILj256E21rocsparse_complex_numIdEEEviiiiPKT0_S5_S5_S5_PS3_S6_S6_S6_,@function
_ZN9rocsparseL44gtsv_nopivot_strided_batch_pcr_stage1_kernelILj256E21rocsparse_complex_numIdEEEviiiiPKT0_S5_S5_S5_PS3_S6_S6_S6_: ; @_ZN9rocsparseL44gtsv_nopivot_strided_batch_pcr_stage1_kernelILj256E21rocsparse_complex_numIdEEEviiiiPKT0_S5_S5_S5_PS3_S6_S6_S6_
; %bb.0:
	s_load_dwordx2 s[22:23], s[0:1], 0x0
	v_lshl_or_b32 v2, s2, 8, v0
	s_waitcnt lgkmcnt(0)
	v_cmp_gt_i32_e32 vcc, s23, v2
	s_and_saveexec_b64 s[4:5], vcc
	s_cbranch_execz .LBB82_2
; %bb.1:
	s_load_dword s2, s[0:1], 0xc
	s_load_dwordx8 s[4:11], s[0:1], 0x30
	s_load_dwordx8 s[12:19], s[0:1], 0x10
	s_mul_i32 s0, s23, s3
	v_subrev_u32_e32 v0, s22, v2
	s_waitcnt lgkmcnt(0)
	s_mul_i32 s2, s2, s3
	s_ashr_i32 s3, s2, 31
	s_lshl_b64 s[24:25], s[2:3], 4
	s_add_u32 s12, s12, s24
	s_addc_u32 s13, s13, s25
	s_ashr_i32 s1, s0, 31
	s_lshl_b64 s[26:27], s[0:1], 4
	s_add_u32 s0, s4, s26
	s_addc_u32 s1, s5, s27
	s_add_u32 s20, s14, s24
	v_max_i32_e32 v4, 0, v0
	v_mov_b32_e32 v5, 0
	s_addc_u32 s21, s15, s25
	v_ashrrev_i32_e32 v3, 31, v2
	v_lshlrev_b64 v[44:45], 4, v[4:5]
	v_lshlrev_b64 v[0:1], 4, v[2:3]
	v_lshl_add_u64 v[14:15], s[20:21], 0, v[44:45]
	s_add_u32 s6, s6, s26
	v_lshl_add_u64 v[12:13], s[12:13], 0, v[0:1]
	global_load_dwordx4 v[4:7], v[14:15], off
	global_load_dwordx4 v[8:11], v[12:13], off
	s_addc_u32 s7, s7, s27
	s_add_u32 s14, s16, s24
	s_addc_u32 s15, s17, s25
	s_add_u32 s2, s8, s26
	;; [unrolled: 2-line block ×4, first 2 shown]
	s_addc_u32 s5, s11, s27
	v_add_u32_e32 v2, s22, v2
	s_add_i32 s10, s23, -1
	v_min_i32_e32 v2, s10, v2
	v_ashrrev_i32_e32 v3, 31, v2
	v_lshlrev_b64 v[2:3], 4, v[2:3]
	v_lshl_add_u64 v[22:23], s[20:21], 0, v[2:3]
	v_lshl_add_u64 v[20:21], s[14:15], 0, v[0:1]
	global_load_dwordx4 v[12:15], v[22:23], off
	global_load_dwordx4 v[16:19], v[20:21], off
	v_lshl_add_u64 v[24:25], s[8:9], 0, v[44:45]
	global_load_dwordx4 v[24:27], v[24:25], off
	v_lshl_add_u64 v[20:21], s[14:15], 0, v[44:45]
	;; [unrolled: 2-line block ×3, first 2 shown]
	v_lshl_add_u64 v[28:29], s[20:21], 0, v[0:1]
	global_load_dwordx4 v[36:39], v[36:37], off
	v_lshl_add_u64 v[40:41], s[8:9], 0, v[2:3]
	global_load_dwordx4 v[28:31], v[28:29], off
	;; [unrolled: 2-line block ×5, first 2 shown]
	s_waitcnt vmcnt(9)
	v_mul_f64 v[52:53], v[6:7], v[10:11]
	global_load_dwordx4 v[48:51], v[2:3], off
	v_mul_f64 v[2:3], v[6:7], v[6:7]
	v_mul_f64 v[6:7], v[6:7], -v[8:9]
	v_fmac_f64_e32 v[2:3], v[4:5], v[4:5]
	v_fmac_f64_e32 v[52:53], v[8:9], v[4:5]
	;; [unrolled: 1-line block ×3, first 2 shown]
	v_div_scale_f64 v[4:5], s[8:9], v[2:3], v[2:3], 1.0
	v_rcp_f64_e32 v[8:9], v[4:5]
	v_div_scale_f64 v[54:55], vcc, 1.0, v[2:3], 1.0
	v_lshl_add_u64 v[10:11], s[6:7], 0, v[0:1]
	v_fma_f64 v[56:57], -v[4:5], v[8:9], 1.0
	v_fmac_f64_e32 v[8:9], v[8:9], v[56:57]
	v_fma_f64 v[56:57], -v[4:5], v[8:9], 1.0
	v_fmac_f64_e32 v[8:9], v[8:9], v[56:57]
	v_mul_f64 v[56:57], v[54:55], v[8:9]
	v_fma_f64 v[4:5], -v[4:5], v[56:57], v[54:55]
	v_div_fmas_f64 v[4:5], v[4:5], v[8:9], v[56:57]
	s_waitcnt vmcnt(9)
	v_mul_f64 v[8:9], v[14:15], v[14:15]
	s_waitcnt vmcnt(8)
	v_mul_f64 v[54:55], v[14:15], v[18:19]
	v_mul_f64 v[14:15], v[14:15], -v[16:17]
	v_div_fixup_f64 v[2:3], v[4:5], v[2:3], 1.0
	v_fmac_f64_e32 v[8:9], v[12:13], v[12:13]
	v_fmac_f64_e32 v[54:55], v[16:17], v[12:13]
	v_fmac_f64_e32 v[14:15], v[18:19], v[12:13]
	v_mul_f64 v[12:13], v[2:3], v[52:53]
	v_mul_f64 v[16:17], v[2:3], v[6:7]
	v_div_scale_f64 v[2:3], s[6:7], v[8:9], v[8:9], 1.0
	v_rcp_f64_e32 v[6:7], v[2:3]
	s_waitcnt vmcnt(7)
	v_mul_f64 v[58:59], v[16:17], v[24:25]
	v_mul_f64 v[56:57], v[16:17], -v[26:27]
	v_fmac_f64_e32 v[58:59], v[26:27], v[12:13]
	v_fma_f64 v[26:27], -v[2:3], v[6:7], 1.0
	v_fmac_f64_e32 v[6:7], v[6:7], v[26:27]
	v_fma_f64 v[26:27], -v[2:3], v[6:7], 1.0
	v_div_scale_f64 v[4:5], vcc, 1.0, v[8:9], 1.0
	v_fmac_f64_e32 v[6:7], v[6:7], v[26:27]
	v_mul_f64 v[26:27], v[4:5], v[6:7]
	v_fma_f64 v[2:3], -v[2:3], v[26:27], v[4:5]
	s_nop 0
	v_div_fmas_f64 v[2:3], v[2:3], v[6:7], v[26:27]
	v_div_fixup_f64 v[2:3], v[2:3], v[8:9], 1.0
	s_waitcnt vmcnt(6)
	v_mul_f64 v[18:19], v[16:17], -v[22:23]
	v_mul_f64 v[52:53], v[16:17], v[20:21]
	v_mul_f64 v[14:15], v[2:3], v[14:15]
	v_fmac_f64_e32 v[18:19], v[20:21], v[12:13]
	v_fmac_f64_e32 v[52:53], v[22:23], v[12:13]
	v_mul_f64 v[26:27], v[2:3], v[54:55]
	s_waitcnt vmcnt(5)
	v_mul_f64 v[2:3], v[14:15], -v[38:39]
	v_mul_f64 v[4:5], v[14:15], v[36:37]
	v_fmac_f64_e32 v[56:57], v[24:25], v[12:13]
	s_waitcnt vmcnt(4)
	v_add_f64 v[18:19], v[28:29], -v[18:19]
	v_add_f64 v[20:21], v[30:31], -v[52:53]
	s_waitcnt vmcnt(3)
	v_mul_f64 v[6:7], v[14:15], -v[42:43]
	v_mul_f64 v[8:9], v[40:41], v[14:15]
	v_fmac_f64_e32 v[2:3], v[36:37], v[26:27]
	v_fmac_f64_e32 v[4:5], v[38:39], v[26:27]
	s_waitcnt vmcnt(2)
	v_add_f64 v[22:23], v[32:33], -v[56:57]
	v_add_f64 v[24:25], v[34:35], -v[58:59]
	v_fmac_f64_e32 v[6:7], v[40:41], v[26:27]
	v_fmac_f64_e32 v[8:9], v[42:43], v[26:27]
	v_add_f64 v[2:3], v[18:19], -v[2:3]
	v_add_f64 v[4:5], v[20:21], -v[4:5]
	;; [unrolled: 1-line block ×3, first 2 shown]
	global_store_dwordx4 v[10:11], v[2:5], off
	v_add_f64 v[8:9], v[24:25], -v[8:9]
	s_nop 0
	v_lshl_add_u64 v[2:3], s[4:5], 0, v[0:1]
	global_store_dwordx4 v[2:3], v[6:9], off
	s_waitcnt vmcnt(3)
	v_mul_f64 v[2:3], v[16:17], v[46:47]
	v_mul_f64 v[4:5], v[16:17], -v[44:45]
	v_fma_f64 v[2:3], -v[44:45], v[12:13], v[2:3]
	v_fma_f64 v[4:5], -v[46:47], v[12:13], v[4:5]
	v_lshl_add_u64 v[6:7], s[0:1], 0, v[0:1]
	global_store_dwordx4 v[6:7], v[2:5], off
	v_lshl_add_u64 v[0:1], s[2:3], 0, v[0:1]
	s_waitcnt vmcnt(3)
	v_mul_f64 v[2:3], v[14:15], v[50:51]
	v_mul_f64 v[4:5], v[14:15], -v[48:49]
	v_fma_f64 v[2:3], -v[48:49], v[26:27], v[2:3]
	v_fma_f64 v[4:5], -v[50:51], v[26:27], v[4:5]
	global_store_dwordx4 v[0:1], v[2:5], off
.LBB82_2:
	s_endpgm
	.section	.rodata,"a",@progbits
	.p2align	6, 0x0
	.amdhsa_kernel _ZN9rocsparseL44gtsv_nopivot_strided_batch_pcr_stage1_kernelILj256E21rocsparse_complex_numIdEEEviiiiPKT0_S5_S5_S5_PS3_S6_S6_S6_
		.amdhsa_group_segment_fixed_size 0
		.amdhsa_private_segment_fixed_size 0
		.amdhsa_kernarg_size 80
		.amdhsa_user_sgpr_count 2
		.amdhsa_user_sgpr_dispatch_ptr 0
		.amdhsa_user_sgpr_queue_ptr 0
		.amdhsa_user_sgpr_kernarg_segment_ptr 1
		.amdhsa_user_sgpr_dispatch_id 0
		.amdhsa_user_sgpr_kernarg_preload_length 0
		.amdhsa_user_sgpr_kernarg_preload_offset 0
		.amdhsa_user_sgpr_private_segment_size 0
		.amdhsa_uses_dynamic_stack 0
		.amdhsa_enable_private_segment 0
		.amdhsa_system_sgpr_workgroup_id_x 1
		.amdhsa_system_sgpr_workgroup_id_y 1
		.amdhsa_system_sgpr_workgroup_id_z 0
		.amdhsa_system_sgpr_workgroup_info 0
		.amdhsa_system_vgpr_workitem_id 0
		.amdhsa_next_free_vgpr 60
		.amdhsa_next_free_sgpr 28
		.amdhsa_accum_offset 60
		.amdhsa_reserve_vcc 1
		.amdhsa_float_round_mode_32 0
		.amdhsa_float_round_mode_16_64 0
		.amdhsa_float_denorm_mode_32 3
		.amdhsa_float_denorm_mode_16_64 3
		.amdhsa_dx10_clamp 1
		.amdhsa_ieee_mode 1
		.amdhsa_fp16_overflow 0
		.amdhsa_tg_split 0
		.amdhsa_exception_fp_ieee_invalid_op 0
		.amdhsa_exception_fp_denorm_src 0
		.amdhsa_exception_fp_ieee_div_zero 0
		.amdhsa_exception_fp_ieee_overflow 0
		.amdhsa_exception_fp_ieee_underflow 0
		.amdhsa_exception_fp_ieee_inexact 0
		.amdhsa_exception_int_div_zero 0
	.end_amdhsa_kernel
	.section	.text._ZN9rocsparseL44gtsv_nopivot_strided_batch_pcr_stage1_kernelILj256E21rocsparse_complex_numIdEEEviiiiPKT0_S5_S5_S5_PS3_S6_S6_S6_,"axG",@progbits,_ZN9rocsparseL44gtsv_nopivot_strided_batch_pcr_stage1_kernelILj256E21rocsparse_complex_numIdEEEviiiiPKT0_S5_S5_S5_PS3_S6_S6_S6_,comdat
.Lfunc_end82:
	.size	_ZN9rocsparseL44gtsv_nopivot_strided_batch_pcr_stage1_kernelILj256E21rocsparse_complex_numIdEEEviiiiPKT0_S5_S5_S5_PS3_S6_S6_S6_, .Lfunc_end82-_ZN9rocsparseL44gtsv_nopivot_strided_batch_pcr_stage1_kernelILj256E21rocsparse_complex_numIdEEEviiiiPKT0_S5_S5_S5_PS3_S6_S6_S6_
                                        ; -- End function
	.set _ZN9rocsparseL44gtsv_nopivot_strided_batch_pcr_stage1_kernelILj256E21rocsparse_complex_numIdEEEviiiiPKT0_S5_S5_S5_PS3_S6_S6_S6_.num_vgpr, 60
	.set _ZN9rocsparseL44gtsv_nopivot_strided_batch_pcr_stage1_kernelILj256E21rocsparse_complex_numIdEEEviiiiPKT0_S5_S5_S5_PS3_S6_S6_S6_.num_agpr, 0
	.set _ZN9rocsparseL44gtsv_nopivot_strided_batch_pcr_stage1_kernelILj256E21rocsparse_complex_numIdEEEviiiiPKT0_S5_S5_S5_PS3_S6_S6_S6_.numbered_sgpr, 28
	.set _ZN9rocsparseL44gtsv_nopivot_strided_batch_pcr_stage1_kernelILj256E21rocsparse_complex_numIdEEEviiiiPKT0_S5_S5_S5_PS3_S6_S6_S6_.num_named_barrier, 0
	.set _ZN9rocsparseL44gtsv_nopivot_strided_batch_pcr_stage1_kernelILj256E21rocsparse_complex_numIdEEEviiiiPKT0_S5_S5_S5_PS3_S6_S6_S6_.private_seg_size, 0
	.set _ZN9rocsparseL44gtsv_nopivot_strided_batch_pcr_stage1_kernelILj256E21rocsparse_complex_numIdEEEviiiiPKT0_S5_S5_S5_PS3_S6_S6_S6_.uses_vcc, 1
	.set _ZN9rocsparseL44gtsv_nopivot_strided_batch_pcr_stage1_kernelILj256E21rocsparse_complex_numIdEEEviiiiPKT0_S5_S5_S5_PS3_S6_S6_S6_.uses_flat_scratch, 0
	.set _ZN9rocsparseL44gtsv_nopivot_strided_batch_pcr_stage1_kernelILj256E21rocsparse_complex_numIdEEEviiiiPKT0_S5_S5_S5_PS3_S6_S6_S6_.has_dyn_sized_stack, 0
	.set _ZN9rocsparseL44gtsv_nopivot_strided_batch_pcr_stage1_kernelILj256E21rocsparse_complex_numIdEEEviiiiPKT0_S5_S5_S5_PS3_S6_S6_S6_.has_recursion, 0
	.set _ZN9rocsparseL44gtsv_nopivot_strided_batch_pcr_stage1_kernelILj256E21rocsparse_complex_numIdEEEviiiiPKT0_S5_S5_S5_PS3_S6_S6_S6_.has_indirect_call, 0
	.section	.AMDGPU.csdata,"",@progbits
; Kernel info:
; codeLenInByte = 996
; TotalNumSgprs: 34
; NumVgprs: 60
; NumAgprs: 0
; TotalNumVgprs: 60
; ScratchSize: 0
; MemoryBound: 0
; FloatMode: 240
; IeeeMode: 1
; LDSByteSize: 0 bytes/workgroup (compile time only)
; SGPRBlocks: 4
; VGPRBlocks: 7
; NumSGPRsForWavesPerEU: 34
; NumVGPRsForWavesPerEU: 60
; AccumOffset: 60
; Occupancy: 8
; WaveLimiterHint : 0
; COMPUTE_PGM_RSRC2:SCRATCH_EN: 0
; COMPUTE_PGM_RSRC2:USER_SGPR: 2
; COMPUTE_PGM_RSRC2:TRAP_HANDLER: 0
; COMPUTE_PGM_RSRC2:TGID_X_EN: 1
; COMPUTE_PGM_RSRC2:TGID_Y_EN: 1
; COMPUTE_PGM_RSRC2:TGID_Z_EN: 0
; COMPUTE_PGM_RSRC2:TIDIG_COMP_CNT: 0
; COMPUTE_PGM_RSRC3_GFX90A:ACCUM_OFFSET: 14
; COMPUTE_PGM_RSRC3_GFX90A:TG_SPLIT: 0
	.section	.text._ZN9rocsparseL44gtsv_nopivot_strided_batch_pcr_stage2_kernelILj512E21rocsparse_complex_numIdEEEviiiPKT0_S5_S5_S5_PS3_,"axG",@progbits,_ZN9rocsparseL44gtsv_nopivot_strided_batch_pcr_stage2_kernelILj512E21rocsparse_complex_numIdEEEviiiPKT0_S5_S5_S5_PS3_,comdat
	.globl	_ZN9rocsparseL44gtsv_nopivot_strided_batch_pcr_stage2_kernelILj512E21rocsparse_complex_numIdEEEviiiPKT0_S5_S5_S5_PS3_ ; -- Begin function _ZN9rocsparseL44gtsv_nopivot_strided_batch_pcr_stage2_kernelILj512E21rocsparse_complex_numIdEEEviiiPKT0_S5_S5_S5_PS3_
	.p2align	8
	.type	_ZN9rocsparseL44gtsv_nopivot_strided_batch_pcr_stage2_kernelILj512E21rocsparse_complex_numIdEEEviiiPKT0_S5_S5_S5_PS3_,@function
_ZN9rocsparseL44gtsv_nopivot_strided_batch_pcr_stage2_kernelILj512E21rocsparse_complex_numIdEEEviiiPKT0_S5_S5_S5_PS3_: ; @_ZN9rocsparseL44gtsv_nopivot_strided_batch_pcr_stage2_kernelILj512E21rocsparse_complex_numIdEEEviiiPKT0_S5_S5_S5_PS3_
; %bb.0:
	s_load_dword s4, s[0:1], 0x38
	s_load_dword s5, s[0:1], 0x0
	s_load_dwordx8 s[8:15], s[0:1], 0x10
	v_min_u32_e32 v22, 0x1fe, v0
	v_sub_u32_e64 v23, v0, 1 clamp
	s_waitcnt lgkmcnt(0)
	v_mul_lo_u32 v1, s4, v0
	v_add_u32_e32 v1, s2, v1
	s_mul_i32 s6, s5, s3
	s_add_i32 s2, s5, s2
	s_add_i32 s2, s2, s6
	s_sub_i32 s2, s2, s4
	v_add_u32_e32 v2, s6, v1
	v_mov_b32_e32 v3, s2
	v_cmp_gt_i32_e64 s[4:5], s5, v1
	v_lshlrev_b32_e32 v42, 4, v23
	v_lshlrev_b32_e32 v50, 4, v22
	v_cndmask_b32_e64 v2, v3, v2, s[4:5]
	v_mov_b32_e32 v3, 0
	v_lshlrev_b64 v[2:3], 4, v[2:3]
	v_lshl_add_u64 v[4:5], s[8:9], 0, v[2:3]
	global_load_dwordx4 v[6:9], v[4:5], off
	v_lshl_add_u64 v[4:5], s[10:11], 0, v[2:3]
	global_load_dwordx4 v[10:13], v[4:5], off
	v_lshl_add_u64 v[4:5], s[12:13], 0, v[2:3]
	global_load_dwordx4 v[14:17], v[4:5], off
	v_lshl_add_u64 v[2:3], s[14:15], 0, v[2:3]
	global_load_dwordx4 v[18:21], v[2:3], off
	v_lshlrev_b32_e32 v2, 4, v0
	v_or_b32_e32 v5, 0x2000, v2
	v_or_b32_e32 v4, 0x4000, v2
	;; [unrolled: 1-line block ×3, first 2 shown]
	s_movk_i32 s2, 0x80
	s_waitcnt vmcnt(3)
	ds_write2_b64 v2, v[6:7], v[8:9] offset1:1
	s_waitcnt vmcnt(2)
	ds_write2_b64 v5, v[10:11], v[12:13] offset1:1
	;; [unrolled: 2-line block ×4, first 2 shown]
	s_waitcnt lgkmcnt(0)
	s_barrier
	ds_read_b128 v[6:9], v42 offset:8192
	ds_read_b128 v[10:13], v42 offset:16384
	;; [unrolled: 1-line block ×4, first 2 shown]
	ds_read_b128 v[22:25], v2
	ds_read_b128 v[26:29], v2 offset:32768
	ds_read_b128 v[30:33], v50 offset:16
	;; [unrolled: 1-line block ×4, first 2 shown]
	ds_read_b128 v[42:45], v42
	ds_read_b128 v[46:49], v50 offset:8208
	ds_read_b128 v[50:53], v50 offset:16400
	s_waitcnt lgkmcnt(11)
	v_mul_f64 v[54:55], v[8:9], v[8:9]
	s_waitcnt lgkmcnt(7)
	v_mul_f64 v[56:57], v[8:9], v[24:25]
	v_mul_f64 v[8:9], v[8:9], -v[22:23]
	v_fmac_f64_e32 v[8:9], v[24:25], v[6:7]
	s_waitcnt lgkmcnt(1)
	v_mul_f64 v[24:25], v[48:49], v[16:17]
	v_fmac_f64_e32 v[54:55], v[6:7], v[6:7]
	v_fmac_f64_e32 v[56:57], v[22:23], v[6:7]
	v_mul_f64 v[6:7], v[48:49], -v[14:15]
	v_fmac_f64_e32 v[24:25], v[14:15], v[46:47]
	v_div_scale_f64 v[14:15], s[6:7], v[54:55], v[54:55], 1.0
	v_fmac_f64_e32 v[6:7], v[16:17], v[46:47]
	v_rcp_f64_e32 v[16:17], v[14:15]
	v_mul_f64 v[22:23], v[48:49], v[48:49]
	v_fmac_f64_e32 v[22:23], v[46:47], v[46:47]
	v_div_scale_f64 v[46:47], vcc, 1.0, v[54:55], 1.0
	v_fma_f64 v[58:59], -v[14:15], v[16:17], 1.0
	v_fmac_f64_e32 v[16:17], v[16:17], v[58:59]
	v_fma_f64 v[58:59], -v[14:15], v[16:17], 1.0
	v_fmac_f64_e32 v[16:17], v[16:17], v[58:59]
	v_div_scale_f64 v[48:49], s[6:7], v[22:23], v[22:23], 1.0
	v_mul_f64 v[58:59], v[46:47], v[16:17]
	v_fma_f64 v[14:15], -v[14:15], v[58:59], v[46:47]
	v_rcp_f64_e32 v[46:47], v[48:49]
	v_div_fmas_f64 v[14:15], v[14:15], v[16:17], v[58:59]
	v_div_scale_f64 v[16:17], vcc, 1.0, v[22:23], 1.0
	v_fma_f64 v[58:59], -v[48:49], v[46:47], 1.0
	v_fmac_f64_e32 v[46:47], v[46:47], v[58:59]
	v_fma_f64 v[58:59], -v[48:49], v[46:47], 1.0
	v_fmac_f64_e32 v[46:47], v[46:47], v[58:59]
	v_mul_f64 v[58:59], v[16:17], v[46:47]
	v_fma_f64 v[16:17], -v[48:49], v[58:59], v[16:17]
	v_div_fixup_f64 v[14:15], v[14:15], v[54:55], 1.0
	v_div_fmas_f64 v[16:17], v[16:17], v[46:47], v[58:59]
	v_mul_f64 v[48:49], v[14:15], v[8:9]
	v_div_fixup_f64 v[8:9], v[16:17], v[22:23], 1.0
	v_mul_f64 v[46:47], v[14:15], v[56:57]
	v_mul_f64 v[22:23], v[8:9], v[24:25]
	;; [unrolled: 1-line block ×4, first 2 shown]
	v_mul_f64 v[6:7], v[48:49], -v[12:13]
	v_fmac_f64_e32 v[8:9], v[12:13], v[46:47]
	v_mul_f64 v[12:13], v[24:25], v[30:31]
	v_mul_f64 v[14:15], v[48:49], -v[40:41]
	v_mul_f64 v[16:17], v[48:49], v[38:39]
	v_add_f64 v[8:9], v[20:21], -v[8:9]
	v_fmac_f64_e32 v[12:13], v[32:33], v[22:23]
	v_fmac_f64_e32 v[6:7], v[10:11], v[46:47]
	v_mul_f64 v[10:11], v[24:25], -v[32:33]
	v_fmac_f64_e32 v[14:15], v[38:39], v[46:47]
	v_fmac_f64_e32 v[16:17], v[40:41], v[46:47]
	v_mul_f64 v[38:39], v[24:25], -v[36:37]
	v_add_f64 v[8:9], v[8:9], -v[12:13]
	v_mul_f64 v[12:13], v[24:25], v[34:35]
	v_add_f64 v[6:7], v[18:19], -v[6:7]
	v_fmac_f64_e32 v[10:11], v[30:31], v[22:23]
	v_add_f64 v[14:15], v[26:27], -v[14:15]
	v_add_f64 v[16:17], v[28:29], -v[16:17]
	v_fmac_f64_e32 v[38:39], v[34:35], v[22:23]
	v_fmac_f64_e32 v[12:13], v[36:37], v[22:23]
	v_add_f64 v[6:7], v[6:7], -v[10:11]
	v_add_f64 v[10:11], v[14:15], -v[38:39]
	;; [unrolled: 1-line block ×3, first 2 shown]
	v_mul_f64 v[14:15], v[48:49], v[44:45]
	v_mul_f64 v[16:17], v[48:49], -v[42:43]
	s_waitcnt lgkmcnt(0)
	v_mul_f64 v[18:19], v[24:25], v[52:53]
	v_mul_f64 v[20:21], v[24:25], -v[50:51]
	v_fma_f64 v[14:15], -v[42:43], v[46:47], v[14:15]
	v_fma_f64 v[16:17], -v[44:45], v[46:47], v[16:17]
	v_fma_f64 v[18:19], -v[50:51], v[22:23], v[18:19]
	v_fma_f64 v[20:21], -v[52:53], v[22:23], v[20:21]
	s_barrier
	ds_write_b128 v2, v[6:9] offset:8192
	ds_write_b128 v2, v[10:13] offset:32768
	ds_write_b128 v2, v[14:17]
	ds_write_b128 v2, v[18:21] offset:16384
	v_sub_u32_e64 v6, v0, 2 clamp
	v_lshlrev_b32_e32 v42, 4, v6
	s_waitcnt lgkmcnt(0)
	s_barrier
	ds_read_b128 v[6:9], v42 offset:8192
	ds_read_b128 v[10:13], v42 offset:16384
	v_min_u32_e32 v28, 0x1fd, v0
	ds_read_b128 v[14:17], v2
	v_lshlrev_b32_e32 v40, 4, v28
	s_waitcnt lgkmcnt(2)
	v_mul_f64 v[18:19], v[8:9], v[8:9]
	v_fmac_f64_e32 v[18:19], v[6:7], v[6:7]
	v_div_scale_f64 v[20:21], s[6:7], v[18:19], v[18:19], 1.0
	v_rcp_f64_e32 v[22:23], v[20:21]
	s_nop 0
	v_fma_f64 v[24:25], -v[20:21], v[22:23], 1.0
	v_fmac_f64_e32 v[22:23], v[22:23], v[24:25]
	v_fma_f64 v[24:25], -v[20:21], v[22:23], 1.0
	v_fmac_f64_e32 v[22:23], v[22:23], v[24:25]
	v_div_scale_f64 v[24:25], vcc, 1.0, v[18:19], 1.0
	v_mul_f64 v[26:27], v[24:25], v[22:23]
	v_fma_f64 v[20:21], -v[20:21], v[26:27], v[24:25]
	s_nop 1
	v_div_fmas_f64 v[20:21], v[20:21], v[22:23], v[26:27]
	ds_read_b128 v[22:25], v40 offset:8224
	v_div_fixup_f64 v[30:31], v[20:21], v[18:19], 1.0
	ds_read_b128 v[18:21], v2 offset:32768
	s_waitcnt lgkmcnt(2)
	v_mul_f64 v[26:27], v[8:9], v[16:17]
	v_fmac_f64_e32 v[26:27], v[14:15], v[6:7]
	v_mul_f64 v[32:33], v[30:31], v[26:27]
	v_mul_f64 v[8:9], v[8:9], -v[14:15]
	ds_read_b128 v[26:29], v40 offset:16416
	s_waitcnt lgkmcnt(2)
	v_mul_f64 v[14:15], v[24:25], v[24:25]
	v_fmac_f64_e32 v[14:15], v[22:23], v[22:23]
	v_div_scale_f64 v[34:35], s[6:7], v[14:15], v[14:15], 1.0
	v_rcp_f64_e32 v[36:37], v[34:35]
	v_fmac_f64_e32 v[8:9], v[16:17], v[6:7]
	v_mul_f64 v[30:31], v[30:31], v[8:9]
	ds_read_b128 v[6:9], v2 offset:16384
	v_fma_f64 v[16:17], -v[34:35], v[36:37], 1.0
	v_fmac_f64_e32 v[36:37], v[36:37], v[16:17]
	v_fma_f64 v[16:17], -v[34:35], v[36:37], 1.0
	v_fmac_f64_e32 v[36:37], v[36:37], v[16:17]
	v_div_scale_f64 v[16:17], vcc, 1.0, v[14:15], 1.0
	v_mul_f64 v[38:39], v[16:17], v[36:37]
	v_fma_f64 v[16:17], -v[34:35], v[38:39], v[16:17]
	s_nop 1
	v_div_fmas_f64 v[16:17], v[16:17], v[36:37], v[38:39]
	v_div_fixup_f64 v[34:35], v[16:17], v[14:15], 1.0
	ds_read_b128 v[14:17], v2 offset:8192
	s_waitcnt lgkmcnt(1)
	v_mul_f64 v[36:37], v[24:25], v[8:9]
	v_fmac_f64_e32 v[36:37], v[6:7], v[22:23]
	v_mul_f64 v[6:7], v[24:25], -v[6:7]
	v_fmac_f64_e32 v[6:7], v[8:9], v[22:23]
	v_mul_f64 v[22:23], v[30:31], -v[12:13]
	v_mul_f64 v[36:37], v[34:35], v[36:37]
	v_mul_f64 v[34:35], v[34:35], v[6:7]
	v_fmac_f64_e32 v[22:23], v[10:11], v[32:33]
	v_mul_f64 v[10:11], v[30:31], v[10:11]
	ds_read_b128 v[6:9], v40 offset:32
	v_fmac_f64_e32 v[10:11], v[12:13], v[32:33]
	s_waitcnt lgkmcnt(1)
	v_add_f64 v[22:23], v[14:15], -v[22:23]
	v_add_f64 v[24:25], v[16:17], -v[10:11]
	ds_read_b128 v[14:17], v42 offset:32768
	ds_read_b128 v[10:13], v40 offset:32800
	s_waitcnt lgkmcnt(2)
	v_mul_f64 v[38:39], v[34:35], -v[8:9]
	v_mul_f64 v[40:41], v[34:35], v[6:7]
	v_fmac_f64_e32 v[38:39], v[6:7], v[36:37]
	v_fmac_f64_e32 v[40:41], v[8:9], v[36:37]
	v_add_f64 v[6:7], v[22:23], -v[38:39]
	v_add_f64 v[8:9], v[24:25], -v[40:41]
	ds_read_b128 v[22:25], v42
	s_waitcnt lgkmcnt(2)
	v_mul_f64 v[38:39], v[30:31], -v[16:17]
	v_fmac_f64_e32 v[38:39], v[14:15], v[32:33]
	v_mul_f64 v[14:15], v[30:31], v[14:15]
	v_fmac_f64_e32 v[14:15], v[16:17], v[32:33]
	v_add_f64 v[16:17], v[18:19], -v[38:39]
	v_add_f64 v[14:15], v[20:21], -v[14:15]
	s_waitcnt lgkmcnt(1)
	v_mul_f64 v[18:19], v[34:35], -v[12:13]
	v_mul_f64 v[20:21], v[34:35], v[10:11]
	v_fmac_f64_e32 v[18:19], v[10:11], v[36:37]
	v_fmac_f64_e32 v[20:21], v[12:13], v[36:37]
	v_add_f64 v[10:11], v[16:17], -v[18:19]
	v_add_f64 v[12:13], v[14:15], -v[20:21]
	s_waitcnt lgkmcnt(0)
	v_mul_f64 v[14:15], v[30:31], v[24:25]
	v_mul_f64 v[16:17], v[30:31], -v[22:23]
	v_mul_f64 v[18:19], v[34:35], v[28:29]
	v_mul_f64 v[20:21], v[34:35], -v[26:27]
	v_fma_f64 v[14:15], -v[22:23], v[32:33], v[14:15]
	v_fma_f64 v[16:17], -v[24:25], v[32:33], v[16:17]
	;; [unrolled: 1-line block ×4, first 2 shown]
	s_barrier
	ds_write_b128 v2, v[6:9] offset:8192
	ds_write_b128 v2, v[10:13] offset:32768
	ds_write_b128 v2, v[14:17]
	ds_write_b128 v2, v[18:21] offset:16384
	v_sub_u32_e64 v6, v0, 4 clamp
	v_lshlrev_b32_e32 v42, 4, v6
	s_waitcnt lgkmcnt(0)
	s_barrier
	ds_read_b128 v[6:9], v42 offset:8192
	ds_read_b128 v[10:13], v42 offset:16384
	v_min_u32_e32 v28, 0x1fb, v0
	ds_read_b128 v[14:17], v2
	v_lshlrev_b32_e32 v40, 4, v28
	s_waitcnt lgkmcnt(2)
	v_mul_f64 v[18:19], v[8:9], v[8:9]
	v_fmac_f64_e32 v[18:19], v[6:7], v[6:7]
	v_div_scale_f64 v[20:21], s[6:7], v[18:19], v[18:19], 1.0
	v_rcp_f64_e32 v[22:23], v[20:21]
	s_nop 0
	v_fma_f64 v[24:25], -v[20:21], v[22:23], 1.0
	v_fmac_f64_e32 v[22:23], v[22:23], v[24:25]
	v_fma_f64 v[24:25], -v[20:21], v[22:23], 1.0
	v_fmac_f64_e32 v[22:23], v[22:23], v[24:25]
	v_div_scale_f64 v[24:25], vcc, 1.0, v[18:19], 1.0
	v_mul_f64 v[26:27], v[24:25], v[22:23]
	v_fma_f64 v[20:21], -v[20:21], v[26:27], v[24:25]
	s_nop 1
	v_div_fmas_f64 v[20:21], v[20:21], v[22:23], v[26:27]
	ds_read_b128 v[22:25], v40 offset:8256
	v_div_fixup_f64 v[30:31], v[20:21], v[18:19], 1.0
	ds_read_b128 v[18:21], v2 offset:32768
	s_waitcnt lgkmcnt(2)
	v_mul_f64 v[26:27], v[8:9], v[16:17]
	v_fmac_f64_e32 v[26:27], v[14:15], v[6:7]
	v_mul_f64 v[32:33], v[30:31], v[26:27]
	v_mul_f64 v[8:9], v[8:9], -v[14:15]
	ds_read_b128 v[26:29], v40 offset:16448
	s_waitcnt lgkmcnt(2)
	v_mul_f64 v[14:15], v[24:25], v[24:25]
	v_fmac_f64_e32 v[14:15], v[22:23], v[22:23]
	v_div_scale_f64 v[34:35], s[6:7], v[14:15], v[14:15], 1.0
	v_rcp_f64_e32 v[36:37], v[34:35]
	v_fmac_f64_e32 v[8:9], v[16:17], v[6:7]
	v_mul_f64 v[30:31], v[30:31], v[8:9]
	ds_read_b128 v[6:9], v2 offset:16384
	v_fma_f64 v[16:17], -v[34:35], v[36:37], 1.0
	v_fmac_f64_e32 v[36:37], v[36:37], v[16:17]
	v_fma_f64 v[16:17], -v[34:35], v[36:37], 1.0
	v_fmac_f64_e32 v[36:37], v[36:37], v[16:17]
	v_div_scale_f64 v[16:17], vcc, 1.0, v[14:15], 1.0
	v_mul_f64 v[38:39], v[16:17], v[36:37]
	v_fma_f64 v[16:17], -v[34:35], v[38:39], v[16:17]
	s_nop 1
	v_div_fmas_f64 v[16:17], v[16:17], v[36:37], v[38:39]
	v_div_fixup_f64 v[34:35], v[16:17], v[14:15], 1.0
	ds_read_b128 v[14:17], v2 offset:8192
	s_waitcnt lgkmcnt(1)
	v_mul_f64 v[36:37], v[24:25], v[8:9]
	v_fmac_f64_e32 v[36:37], v[6:7], v[22:23]
	v_mul_f64 v[6:7], v[24:25], -v[6:7]
	v_fmac_f64_e32 v[6:7], v[8:9], v[22:23]
	v_mul_f64 v[22:23], v[30:31], -v[12:13]
	v_mul_f64 v[36:37], v[34:35], v[36:37]
	v_mul_f64 v[34:35], v[34:35], v[6:7]
	v_fmac_f64_e32 v[22:23], v[10:11], v[32:33]
	v_mul_f64 v[10:11], v[30:31], v[10:11]
	ds_read_b128 v[6:9], v40 offset:64
	v_fmac_f64_e32 v[10:11], v[12:13], v[32:33]
	s_waitcnt lgkmcnt(1)
	v_add_f64 v[22:23], v[14:15], -v[22:23]
	v_add_f64 v[24:25], v[16:17], -v[10:11]
	ds_read_b128 v[14:17], v42 offset:32768
	ds_read_b128 v[10:13], v40 offset:32832
	s_waitcnt lgkmcnt(2)
	v_mul_f64 v[38:39], v[34:35], -v[8:9]
	v_mul_f64 v[40:41], v[34:35], v[6:7]
	v_fmac_f64_e32 v[38:39], v[6:7], v[36:37]
	v_fmac_f64_e32 v[40:41], v[8:9], v[36:37]
	v_add_f64 v[6:7], v[22:23], -v[38:39]
	v_add_f64 v[8:9], v[24:25], -v[40:41]
	ds_read_b128 v[22:25], v42
	s_waitcnt lgkmcnt(2)
	v_mul_f64 v[38:39], v[30:31], -v[16:17]
	v_fmac_f64_e32 v[38:39], v[14:15], v[32:33]
	v_mul_f64 v[14:15], v[30:31], v[14:15]
	v_fmac_f64_e32 v[14:15], v[16:17], v[32:33]
	v_add_f64 v[16:17], v[18:19], -v[38:39]
	v_add_f64 v[14:15], v[20:21], -v[14:15]
	s_waitcnt lgkmcnt(1)
	v_mul_f64 v[18:19], v[34:35], -v[12:13]
	v_mul_f64 v[20:21], v[34:35], v[10:11]
	v_fmac_f64_e32 v[18:19], v[10:11], v[36:37]
	v_fmac_f64_e32 v[20:21], v[12:13], v[36:37]
	v_add_f64 v[10:11], v[16:17], -v[18:19]
	v_add_f64 v[12:13], v[14:15], -v[20:21]
	s_waitcnt lgkmcnt(0)
	v_mul_f64 v[14:15], v[30:31], v[24:25]
	v_mul_f64 v[16:17], v[30:31], -v[22:23]
	v_mul_f64 v[18:19], v[34:35], v[28:29]
	v_mul_f64 v[20:21], v[34:35], -v[26:27]
	v_fma_f64 v[14:15], -v[22:23], v[32:33], v[14:15]
	v_fma_f64 v[16:17], -v[24:25], v[32:33], v[16:17]
	;; [unrolled: 1-line block ×4, first 2 shown]
	s_barrier
	ds_write_b128 v2, v[6:9] offset:8192
	ds_write_b128 v2, v[10:13] offset:32768
	ds_write_b128 v2, v[14:17]
	ds_write_b128 v2, v[18:21] offset:16384
	v_sub_u32_e64 v6, v0, 8 clamp
	v_lshlrev_b32_e32 v42, 4, v6
	s_waitcnt lgkmcnt(0)
	s_barrier
	ds_read_b128 v[6:9], v42 offset:8192
	ds_read_b128 v[10:13], v42 offset:16384
	v_min_u32_e32 v28, 0x1f7, v0
	ds_read_b128 v[14:17], v2
	v_lshlrev_b32_e32 v40, 4, v28
	s_waitcnt lgkmcnt(2)
	v_mul_f64 v[18:19], v[8:9], v[8:9]
	v_fmac_f64_e32 v[18:19], v[6:7], v[6:7]
	v_div_scale_f64 v[20:21], s[6:7], v[18:19], v[18:19], 1.0
	v_rcp_f64_e32 v[22:23], v[20:21]
	s_nop 0
	v_fma_f64 v[24:25], -v[20:21], v[22:23], 1.0
	v_fmac_f64_e32 v[22:23], v[22:23], v[24:25]
	v_fma_f64 v[24:25], -v[20:21], v[22:23], 1.0
	v_fmac_f64_e32 v[22:23], v[22:23], v[24:25]
	v_div_scale_f64 v[24:25], vcc, 1.0, v[18:19], 1.0
	v_mul_f64 v[26:27], v[24:25], v[22:23]
	v_fma_f64 v[20:21], -v[20:21], v[26:27], v[24:25]
	s_nop 1
	v_div_fmas_f64 v[20:21], v[20:21], v[22:23], v[26:27]
	ds_read_b128 v[22:25], v40 offset:8320
	v_div_fixup_f64 v[30:31], v[20:21], v[18:19], 1.0
	ds_read_b128 v[18:21], v2 offset:32768
	s_waitcnt lgkmcnt(2)
	v_mul_f64 v[26:27], v[8:9], v[16:17]
	v_fmac_f64_e32 v[26:27], v[14:15], v[6:7]
	v_mul_f64 v[32:33], v[30:31], v[26:27]
	v_mul_f64 v[8:9], v[8:9], -v[14:15]
	ds_read_b128 v[26:29], v40 offset:16512
	s_waitcnt lgkmcnt(2)
	v_mul_f64 v[14:15], v[24:25], v[24:25]
	v_fmac_f64_e32 v[14:15], v[22:23], v[22:23]
	v_div_scale_f64 v[34:35], s[6:7], v[14:15], v[14:15], 1.0
	v_rcp_f64_e32 v[36:37], v[34:35]
	v_fmac_f64_e32 v[8:9], v[16:17], v[6:7]
	v_mul_f64 v[30:31], v[30:31], v[8:9]
	ds_read_b128 v[6:9], v2 offset:16384
	v_fma_f64 v[16:17], -v[34:35], v[36:37], 1.0
	v_fmac_f64_e32 v[36:37], v[36:37], v[16:17]
	v_fma_f64 v[16:17], -v[34:35], v[36:37], 1.0
	v_fmac_f64_e32 v[36:37], v[36:37], v[16:17]
	v_div_scale_f64 v[16:17], vcc, 1.0, v[14:15], 1.0
	v_mul_f64 v[38:39], v[16:17], v[36:37]
	v_fma_f64 v[16:17], -v[34:35], v[38:39], v[16:17]
	s_nop 1
	v_div_fmas_f64 v[16:17], v[16:17], v[36:37], v[38:39]
	v_div_fixup_f64 v[34:35], v[16:17], v[14:15], 1.0
	ds_read_b128 v[14:17], v2 offset:8192
	s_waitcnt lgkmcnt(1)
	v_mul_f64 v[36:37], v[24:25], v[8:9]
	v_fmac_f64_e32 v[36:37], v[6:7], v[22:23]
	v_mul_f64 v[6:7], v[24:25], -v[6:7]
	v_fmac_f64_e32 v[6:7], v[8:9], v[22:23]
	v_mul_f64 v[22:23], v[30:31], -v[12:13]
	v_mul_f64 v[36:37], v[34:35], v[36:37]
	v_mul_f64 v[34:35], v[34:35], v[6:7]
	v_fmac_f64_e32 v[22:23], v[10:11], v[32:33]
	v_mul_f64 v[10:11], v[30:31], v[10:11]
	ds_read_b128 v[6:9], v40 offset:128
	v_fmac_f64_e32 v[10:11], v[12:13], v[32:33]
	s_waitcnt lgkmcnt(1)
	v_add_f64 v[22:23], v[14:15], -v[22:23]
	v_add_f64 v[24:25], v[16:17], -v[10:11]
	ds_read_b128 v[14:17], v42 offset:32768
	ds_read_b128 v[10:13], v40 offset:32896
	s_waitcnt lgkmcnt(2)
	v_mul_f64 v[38:39], v[34:35], -v[8:9]
	v_mul_f64 v[40:41], v[34:35], v[6:7]
	v_fmac_f64_e32 v[38:39], v[6:7], v[36:37]
	v_fmac_f64_e32 v[40:41], v[8:9], v[36:37]
	v_add_f64 v[6:7], v[22:23], -v[38:39]
	v_add_f64 v[8:9], v[24:25], -v[40:41]
	ds_read_b128 v[22:25], v42
	s_waitcnt lgkmcnt(2)
	v_mul_f64 v[38:39], v[30:31], -v[16:17]
	v_fmac_f64_e32 v[38:39], v[14:15], v[32:33]
	v_mul_f64 v[14:15], v[30:31], v[14:15]
	v_fmac_f64_e32 v[14:15], v[16:17], v[32:33]
	v_add_f64 v[16:17], v[18:19], -v[38:39]
	v_add_f64 v[14:15], v[20:21], -v[14:15]
	s_waitcnt lgkmcnt(1)
	v_mul_f64 v[18:19], v[34:35], -v[12:13]
	v_mul_f64 v[20:21], v[34:35], v[10:11]
	v_fmac_f64_e32 v[18:19], v[10:11], v[36:37]
	v_fmac_f64_e32 v[20:21], v[12:13], v[36:37]
	v_add_f64 v[10:11], v[16:17], -v[18:19]
	v_add_f64 v[12:13], v[14:15], -v[20:21]
	s_waitcnt lgkmcnt(0)
	v_mul_f64 v[14:15], v[30:31], v[24:25]
	v_mul_f64 v[16:17], v[30:31], -v[22:23]
	v_mul_f64 v[18:19], v[34:35], v[28:29]
	v_mul_f64 v[20:21], v[34:35], -v[26:27]
	v_fma_f64 v[14:15], -v[22:23], v[32:33], v[14:15]
	v_fma_f64 v[16:17], -v[24:25], v[32:33], v[16:17]
	;; [unrolled: 1-line block ×4, first 2 shown]
	s_barrier
	ds_write_b128 v2, v[6:9] offset:8192
	ds_write_b128 v2, v[10:13] offset:32768
	ds_write_b128 v2, v[14:17]
	ds_write_b128 v2, v[18:21] offset:16384
	v_sub_u32_e64 v6, v0, 16 clamp
	v_lshlrev_b32_e32 v42, 4, v6
	s_waitcnt lgkmcnt(0)
	s_barrier
	ds_read_b128 v[6:9], v42 offset:8192
	ds_read_b128 v[10:13], v42 offset:16384
	v_min_u32_e32 v28, 0x1ef, v0
	ds_read_b128 v[14:17], v2
	v_lshlrev_b32_e32 v40, 4, v28
	s_waitcnt lgkmcnt(2)
	v_mul_f64 v[18:19], v[8:9], v[8:9]
	v_fmac_f64_e32 v[18:19], v[6:7], v[6:7]
	v_div_scale_f64 v[20:21], s[6:7], v[18:19], v[18:19], 1.0
	v_rcp_f64_e32 v[22:23], v[20:21]
	s_nop 0
	v_fma_f64 v[24:25], -v[20:21], v[22:23], 1.0
	v_fmac_f64_e32 v[22:23], v[22:23], v[24:25]
	v_fma_f64 v[24:25], -v[20:21], v[22:23], 1.0
	v_fmac_f64_e32 v[22:23], v[22:23], v[24:25]
	v_div_scale_f64 v[24:25], vcc, 1.0, v[18:19], 1.0
	v_mul_f64 v[26:27], v[24:25], v[22:23]
	v_fma_f64 v[20:21], -v[20:21], v[26:27], v[24:25]
	s_nop 1
	v_div_fmas_f64 v[20:21], v[20:21], v[22:23], v[26:27]
	ds_read_b128 v[22:25], v40 offset:8448
	v_div_fixup_f64 v[30:31], v[20:21], v[18:19], 1.0
	ds_read_b128 v[18:21], v2 offset:32768
	s_waitcnt lgkmcnt(2)
	v_mul_f64 v[26:27], v[8:9], v[16:17]
	v_fmac_f64_e32 v[26:27], v[14:15], v[6:7]
	v_mul_f64 v[32:33], v[30:31], v[26:27]
	v_mul_f64 v[8:9], v[8:9], -v[14:15]
	ds_read_b128 v[26:29], v40 offset:16640
	s_waitcnt lgkmcnt(2)
	v_mul_f64 v[14:15], v[24:25], v[24:25]
	v_fmac_f64_e32 v[14:15], v[22:23], v[22:23]
	v_div_scale_f64 v[34:35], s[6:7], v[14:15], v[14:15], 1.0
	v_rcp_f64_e32 v[36:37], v[34:35]
	v_fmac_f64_e32 v[8:9], v[16:17], v[6:7]
	v_mul_f64 v[30:31], v[30:31], v[8:9]
	ds_read_b128 v[6:9], v2 offset:16384
	v_fma_f64 v[16:17], -v[34:35], v[36:37], 1.0
	v_fmac_f64_e32 v[36:37], v[36:37], v[16:17]
	v_fma_f64 v[16:17], -v[34:35], v[36:37], 1.0
	v_fmac_f64_e32 v[36:37], v[36:37], v[16:17]
	v_div_scale_f64 v[16:17], vcc, 1.0, v[14:15], 1.0
	v_mul_f64 v[38:39], v[16:17], v[36:37]
	v_fma_f64 v[16:17], -v[34:35], v[38:39], v[16:17]
	s_nop 1
	v_div_fmas_f64 v[16:17], v[16:17], v[36:37], v[38:39]
	v_div_fixup_f64 v[34:35], v[16:17], v[14:15], 1.0
	ds_read_b128 v[14:17], v2 offset:8192
	s_waitcnt lgkmcnt(1)
	v_mul_f64 v[36:37], v[24:25], v[8:9]
	v_fmac_f64_e32 v[36:37], v[6:7], v[22:23]
	v_mul_f64 v[6:7], v[24:25], -v[6:7]
	v_fmac_f64_e32 v[6:7], v[8:9], v[22:23]
	v_mul_f64 v[22:23], v[30:31], -v[12:13]
	v_mul_f64 v[36:37], v[34:35], v[36:37]
	v_mul_f64 v[34:35], v[34:35], v[6:7]
	v_fmac_f64_e32 v[22:23], v[10:11], v[32:33]
	v_mul_f64 v[10:11], v[30:31], v[10:11]
	ds_read_b128 v[6:9], v40 offset:256
	v_fmac_f64_e32 v[10:11], v[12:13], v[32:33]
	s_waitcnt lgkmcnt(1)
	v_add_f64 v[22:23], v[14:15], -v[22:23]
	v_add_f64 v[24:25], v[16:17], -v[10:11]
	ds_read_b128 v[14:17], v42 offset:32768
	ds_read_b128 v[10:13], v40 offset:33024
	s_waitcnt lgkmcnt(2)
	v_mul_f64 v[38:39], v[34:35], -v[8:9]
	v_mul_f64 v[40:41], v[34:35], v[6:7]
	v_fmac_f64_e32 v[38:39], v[6:7], v[36:37]
	v_fmac_f64_e32 v[40:41], v[8:9], v[36:37]
	v_add_f64 v[6:7], v[22:23], -v[38:39]
	v_add_f64 v[8:9], v[24:25], -v[40:41]
	ds_read_b128 v[22:25], v42
	s_waitcnt lgkmcnt(2)
	v_mul_f64 v[38:39], v[30:31], -v[16:17]
	v_fmac_f64_e32 v[38:39], v[14:15], v[32:33]
	v_mul_f64 v[14:15], v[30:31], v[14:15]
	v_fmac_f64_e32 v[14:15], v[16:17], v[32:33]
	v_add_f64 v[16:17], v[18:19], -v[38:39]
	v_add_f64 v[14:15], v[20:21], -v[14:15]
	s_waitcnt lgkmcnt(1)
	v_mul_f64 v[18:19], v[34:35], -v[12:13]
	v_mul_f64 v[20:21], v[34:35], v[10:11]
	v_fmac_f64_e32 v[18:19], v[10:11], v[36:37]
	v_fmac_f64_e32 v[20:21], v[12:13], v[36:37]
	v_add_f64 v[10:11], v[16:17], -v[18:19]
	v_add_f64 v[12:13], v[14:15], -v[20:21]
	s_waitcnt lgkmcnt(0)
	v_mul_f64 v[14:15], v[30:31], v[24:25]
	v_mul_f64 v[16:17], v[30:31], -v[22:23]
	v_mul_f64 v[18:19], v[34:35], v[28:29]
	v_mul_f64 v[20:21], v[34:35], -v[26:27]
	v_fma_f64 v[14:15], -v[22:23], v[32:33], v[14:15]
	v_fma_f64 v[16:17], -v[24:25], v[32:33], v[16:17]
	;; [unrolled: 1-line block ×4, first 2 shown]
	s_barrier
	ds_write_b128 v2, v[6:9] offset:8192
	ds_write_b128 v2, v[10:13] offset:32768
	ds_write_b128 v2, v[14:17]
	ds_write_b128 v2, v[18:21] offset:16384
	v_sub_u32_e64 v6, v0, 32 clamp
	v_lshlrev_b32_e32 v42, 4, v6
	s_waitcnt lgkmcnt(0)
	s_barrier
	ds_read_b128 v[6:9], v42 offset:8192
	ds_read_b128 v[10:13], v42 offset:16384
	v_min_u32_e32 v28, 0x1df, v0
	ds_read_b128 v[14:17], v2
	v_lshlrev_b32_e32 v40, 4, v28
	s_waitcnt lgkmcnt(2)
	v_mul_f64 v[18:19], v[8:9], v[8:9]
	v_fmac_f64_e32 v[18:19], v[6:7], v[6:7]
	v_div_scale_f64 v[20:21], s[6:7], v[18:19], v[18:19], 1.0
	v_rcp_f64_e32 v[22:23], v[20:21]
	s_nop 0
	v_fma_f64 v[24:25], -v[20:21], v[22:23], 1.0
	v_fmac_f64_e32 v[22:23], v[22:23], v[24:25]
	v_fma_f64 v[24:25], -v[20:21], v[22:23], 1.0
	v_fmac_f64_e32 v[22:23], v[22:23], v[24:25]
	v_div_scale_f64 v[24:25], vcc, 1.0, v[18:19], 1.0
	v_mul_f64 v[26:27], v[24:25], v[22:23]
	v_fma_f64 v[20:21], -v[20:21], v[26:27], v[24:25]
	s_nop 1
	v_div_fmas_f64 v[20:21], v[20:21], v[22:23], v[26:27]
	ds_read_b128 v[22:25], v40 offset:8704
	v_div_fixup_f64 v[30:31], v[20:21], v[18:19], 1.0
	ds_read_b128 v[18:21], v2 offset:32768
	s_waitcnt lgkmcnt(2)
	v_mul_f64 v[26:27], v[8:9], v[16:17]
	v_fmac_f64_e32 v[26:27], v[14:15], v[6:7]
	v_mul_f64 v[32:33], v[30:31], v[26:27]
	v_mul_f64 v[8:9], v[8:9], -v[14:15]
	ds_read_b128 v[26:29], v40 offset:16896
	s_waitcnt lgkmcnt(2)
	v_mul_f64 v[14:15], v[24:25], v[24:25]
	v_fmac_f64_e32 v[14:15], v[22:23], v[22:23]
	v_div_scale_f64 v[34:35], s[6:7], v[14:15], v[14:15], 1.0
	v_rcp_f64_e32 v[36:37], v[34:35]
	v_fmac_f64_e32 v[8:9], v[16:17], v[6:7]
	v_mul_f64 v[30:31], v[30:31], v[8:9]
	ds_read_b128 v[6:9], v2 offset:16384
	v_fma_f64 v[16:17], -v[34:35], v[36:37], 1.0
	v_fmac_f64_e32 v[36:37], v[36:37], v[16:17]
	v_fma_f64 v[16:17], -v[34:35], v[36:37], 1.0
	v_fmac_f64_e32 v[36:37], v[36:37], v[16:17]
	v_div_scale_f64 v[16:17], vcc, 1.0, v[14:15], 1.0
	v_mul_f64 v[38:39], v[16:17], v[36:37]
	v_fma_f64 v[16:17], -v[34:35], v[38:39], v[16:17]
	s_nop 1
	v_div_fmas_f64 v[16:17], v[16:17], v[36:37], v[38:39]
	v_div_fixup_f64 v[34:35], v[16:17], v[14:15], 1.0
	ds_read_b128 v[14:17], v2 offset:8192
	s_waitcnt lgkmcnt(1)
	v_mul_f64 v[36:37], v[24:25], v[8:9]
	v_fmac_f64_e32 v[36:37], v[6:7], v[22:23]
	v_mul_f64 v[6:7], v[24:25], -v[6:7]
	v_fmac_f64_e32 v[6:7], v[8:9], v[22:23]
	v_mul_f64 v[22:23], v[30:31], -v[12:13]
	v_mul_f64 v[36:37], v[34:35], v[36:37]
	v_mul_f64 v[34:35], v[34:35], v[6:7]
	v_fmac_f64_e32 v[22:23], v[10:11], v[32:33]
	v_mul_f64 v[10:11], v[30:31], v[10:11]
	ds_read_b128 v[6:9], v40 offset:512
	v_fmac_f64_e32 v[10:11], v[12:13], v[32:33]
	s_waitcnt lgkmcnt(1)
	v_add_f64 v[22:23], v[14:15], -v[22:23]
	v_add_f64 v[24:25], v[16:17], -v[10:11]
	ds_read_b128 v[14:17], v42 offset:32768
	ds_read_b128 v[10:13], v40 offset:33280
	s_waitcnt lgkmcnt(2)
	v_mul_f64 v[38:39], v[34:35], -v[8:9]
	v_mul_f64 v[40:41], v[34:35], v[6:7]
	v_fmac_f64_e32 v[38:39], v[6:7], v[36:37]
	v_fmac_f64_e32 v[40:41], v[8:9], v[36:37]
	v_add_f64 v[6:7], v[22:23], -v[38:39]
	v_add_f64 v[8:9], v[24:25], -v[40:41]
	ds_read_b128 v[22:25], v42
	s_waitcnt lgkmcnt(2)
	v_mul_f64 v[38:39], v[30:31], -v[16:17]
	v_fmac_f64_e32 v[38:39], v[14:15], v[32:33]
	v_mul_f64 v[14:15], v[30:31], v[14:15]
	v_fmac_f64_e32 v[14:15], v[16:17], v[32:33]
	v_add_f64 v[16:17], v[18:19], -v[38:39]
	v_add_f64 v[14:15], v[20:21], -v[14:15]
	s_waitcnt lgkmcnt(1)
	v_mul_f64 v[18:19], v[34:35], -v[12:13]
	v_mul_f64 v[20:21], v[34:35], v[10:11]
	v_fmac_f64_e32 v[18:19], v[10:11], v[36:37]
	v_fmac_f64_e32 v[20:21], v[12:13], v[36:37]
	v_add_f64 v[10:11], v[16:17], -v[18:19]
	v_add_f64 v[12:13], v[14:15], -v[20:21]
	s_waitcnt lgkmcnt(0)
	v_mul_f64 v[14:15], v[30:31], v[24:25]
	v_mul_f64 v[16:17], v[30:31], -v[22:23]
	v_mul_f64 v[18:19], v[34:35], v[28:29]
	v_mul_f64 v[20:21], v[34:35], -v[26:27]
	v_fma_f64 v[14:15], -v[22:23], v[32:33], v[14:15]
	v_fma_f64 v[16:17], -v[24:25], v[32:33], v[16:17]
	;; [unrolled: 1-line block ×4, first 2 shown]
	s_barrier
	ds_write_b128 v2, v[6:9] offset:8192
	ds_write_b128 v2, v[10:13] offset:32768
	ds_write_b128 v2, v[14:17]
	ds_write_b128 v2, v[18:21] offset:16384
	v_sub_u32_e64 v6, v0, 64 clamp
	v_lshlrev_b32_e32 v42, 4, v6
	s_waitcnt lgkmcnt(0)
	s_barrier
	ds_read_b128 v[6:9], v42 offset:8192
	ds_read_b128 v[10:13], v42 offset:16384
	v_min_u32_e32 v28, 0x1bf, v0
	ds_read_b128 v[14:17], v2
	v_lshlrev_b32_e32 v40, 4, v28
	s_waitcnt lgkmcnt(2)
	v_mul_f64 v[18:19], v[8:9], v[8:9]
	v_fmac_f64_e32 v[18:19], v[6:7], v[6:7]
	v_div_scale_f64 v[20:21], s[6:7], v[18:19], v[18:19], 1.0
	v_rcp_f64_e32 v[22:23], v[20:21]
	s_nop 0
	v_fma_f64 v[24:25], -v[20:21], v[22:23], 1.0
	v_fmac_f64_e32 v[22:23], v[22:23], v[24:25]
	v_fma_f64 v[24:25], -v[20:21], v[22:23], 1.0
	v_fmac_f64_e32 v[22:23], v[22:23], v[24:25]
	v_div_scale_f64 v[24:25], vcc, 1.0, v[18:19], 1.0
	v_mul_f64 v[26:27], v[24:25], v[22:23]
	v_fma_f64 v[20:21], -v[20:21], v[26:27], v[24:25]
	s_nop 1
	v_div_fmas_f64 v[20:21], v[20:21], v[22:23], v[26:27]
	ds_read_b128 v[22:25], v40 offset:9216
	v_div_fixup_f64 v[30:31], v[20:21], v[18:19], 1.0
	ds_read_b128 v[18:21], v2 offset:32768
	s_waitcnt lgkmcnt(2)
	v_mul_f64 v[26:27], v[8:9], v[16:17]
	v_fmac_f64_e32 v[26:27], v[14:15], v[6:7]
	v_mul_f64 v[32:33], v[30:31], v[26:27]
	v_mul_f64 v[8:9], v[8:9], -v[14:15]
	ds_read_b128 v[26:29], v40 offset:17408
	s_waitcnt lgkmcnt(2)
	v_mul_f64 v[14:15], v[24:25], v[24:25]
	v_fmac_f64_e32 v[14:15], v[22:23], v[22:23]
	v_div_scale_f64 v[34:35], s[6:7], v[14:15], v[14:15], 1.0
	v_rcp_f64_e32 v[36:37], v[34:35]
	v_fmac_f64_e32 v[8:9], v[16:17], v[6:7]
	v_mul_f64 v[30:31], v[30:31], v[8:9]
	ds_read_b128 v[6:9], v2 offset:16384
	v_fma_f64 v[16:17], -v[34:35], v[36:37], 1.0
	v_fmac_f64_e32 v[36:37], v[36:37], v[16:17]
	v_fma_f64 v[16:17], -v[34:35], v[36:37], 1.0
	v_fmac_f64_e32 v[36:37], v[36:37], v[16:17]
	v_div_scale_f64 v[16:17], vcc, 1.0, v[14:15], 1.0
	v_mul_f64 v[38:39], v[16:17], v[36:37]
	v_fma_f64 v[16:17], -v[34:35], v[38:39], v[16:17]
	s_nop 1
	v_div_fmas_f64 v[16:17], v[16:17], v[36:37], v[38:39]
	v_div_fixup_f64 v[34:35], v[16:17], v[14:15], 1.0
	ds_read_b128 v[14:17], v2 offset:8192
	s_waitcnt lgkmcnt(1)
	v_mul_f64 v[36:37], v[24:25], v[8:9]
	v_fmac_f64_e32 v[36:37], v[6:7], v[22:23]
	v_mul_f64 v[6:7], v[24:25], -v[6:7]
	v_fmac_f64_e32 v[6:7], v[8:9], v[22:23]
	v_mul_f64 v[22:23], v[30:31], -v[12:13]
	v_mul_f64 v[36:37], v[34:35], v[36:37]
	v_mul_f64 v[34:35], v[34:35], v[6:7]
	v_fmac_f64_e32 v[22:23], v[10:11], v[32:33]
	v_mul_f64 v[10:11], v[30:31], v[10:11]
	ds_read_b128 v[6:9], v40 offset:1024
	v_fmac_f64_e32 v[10:11], v[12:13], v[32:33]
	s_waitcnt lgkmcnt(1)
	v_add_f64 v[22:23], v[14:15], -v[22:23]
	v_add_f64 v[24:25], v[16:17], -v[10:11]
	ds_read_b128 v[14:17], v42 offset:32768
	ds_read_b128 v[10:13], v40 offset:33792
	s_waitcnt lgkmcnt(2)
	v_mul_f64 v[38:39], v[34:35], -v[8:9]
	v_mul_f64 v[40:41], v[34:35], v[6:7]
	v_fmac_f64_e32 v[38:39], v[6:7], v[36:37]
	v_fmac_f64_e32 v[40:41], v[8:9], v[36:37]
	v_add_f64 v[6:7], v[22:23], -v[38:39]
	v_add_f64 v[8:9], v[24:25], -v[40:41]
	ds_read_b128 v[22:25], v42
	s_waitcnt lgkmcnt(2)
	v_mul_f64 v[38:39], v[30:31], -v[16:17]
	v_fmac_f64_e32 v[38:39], v[14:15], v[32:33]
	v_mul_f64 v[14:15], v[30:31], v[14:15]
	v_fmac_f64_e32 v[14:15], v[16:17], v[32:33]
	v_add_f64 v[16:17], v[18:19], -v[38:39]
	v_add_f64 v[14:15], v[20:21], -v[14:15]
	s_waitcnt lgkmcnt(1)
	v_mul_f64 v[18:19], v[34:35], -v[12:13]
	v_mul_f64 v[20:21], v[34:35], v[10:11]
	v_fmac_f64_e32 v[18:19], v[10:11], v[36:37]
	v_fmac_f64_e32 v[20:21], v[12:13], v[36:37]
	v_add_f64 v[10:11], v[16:17], -v[18:19]
	v_add_f64 v[12:13], v[14:15], -v[20:21]
	s_waitcnt lgkmcnt(0)
	v_mul_f64 v[14:15], v[30:31], v[24:25]
	v_mul_f64 v[16:17], v[30:31], -v[22:23]
	v_mul_f64 v[18:19], v[34:35], v[28:29]
	v_mul_f64 v[20:21], v[34:35], -v[26:27]
	v_fma_f64 v[14:15], -v[22:23], v[32:33], v[14:15]
	v_fma_f64 v[16:17], -v[24:25], v[32:33], v[16:17]
	v_fma_f64 v[18:19], -v[26:27], v[36:37], v[18:19]
	v_fma_f64 v[20:21], -v[28:29], v[36:37], v[20:21]
	s_barrier
	ds_write_b128 v2, v[6:9] offset:8192
	ds_write_b128 v2, v[10:13] offset:32768
	ds_write_b128 v2, v[14:17]
	ds_write_b128 v2, v[18:21] offset:16384
	v_sub_u32_e64 v6, v0, s2 clamp
	v_lshlrev_b32_e32 v42, 4, v6
	s_waitcnt lgkmcnt(0)
	s_barrier
	ds_read_b128 v[6:9], v42 offset:8192
	ds_read_b128 v[10:13], v42 offset:16384
	v_min_u32_e32 v28, 0x17f, v0
	ds_read_b128 v[14:17], v2
	v_lshlrev_b32_e32 v40, 4, v28
	s_waitcnt lgkmcnt(2)
	v_mul_f64 v[18:19], v[8:9], v[8:9]
	v_fmac_f64_e32 v[18:19], v[6:7], v[6:7]
	v_div_scale_f64 v[20:21], s[6:7], v[18:19], v[18:19], 1.0
	v_rcp_f64_e32 v[22:23], v[20:21]
	s_movk_i32 s2, 0x100
	v_fma_f64 v[24:25], -v[20:21], v[22:23], 1.0
	v_fmac_f64_e32 v[22:23], v[22:23], v[24:25]
	v_fma_f64 v[24:25], -v[20:21], v[22:23], 1.0
	v_fmac_f64_e32 v[22:23], v[22:23], v[24:25]
	v_div_scale_f64 v[24:25], vcc, 1.0, v[18:19], 1.0
	v_mul_f64 v[26:27], v[24:25], v[22:23]
	v_fma_f64 v[20:21], -v[20:21], v[26:27], v[24:25]
	s_nop 1
	v_div_fmas_f64 v[20:21], v[20:21], v[22:23], v[26:27]
	ds_read_b128 v[22:25], v40 offset:10240
	v_div_fixup_f64 v[30:31], v[20:21], v[18:19], 1.0
	ds_read_b128 v[18:21], v2 offset:32768
	s_waitcnt lgkmcnt(2)
	v_mul_f64 v[26:27], v[8:9], v[16:17]
	v_fmac_f64_e32 v[26:27], v[14:15], v[6:7]
	v_mul_f64 v[32:33], v[30:31], v[26:27]
	v_mul_f64 v[8:9], v[8:9], -v[14:15]
	ds_read_b128 v[26:29], v40 offset:18432
	s_waitcnt lgkmcnt(2)
	v_mul_f64 v[14:15], v[24:25], v[24:25]
	v_fmac_f64_e32 v[14:15], v[22:23], v[22:23]
	v_div_scale_f64 v[34:35], s[6:7], v[14:15], v[14:15], 1.0
	v_rcp_f64_e32 v[36:37], v[34:35]
	v_fmac_f64_e32 v[8:9], v[16:17], v[6:7]
	v_mul_f64 v[30:31], v[30:31], v[8:9]
	ds_read_b128 v[6:9], v2 offset:16384
	v_fma_f64 v[16:17], -v[34:35], v[36:37], 1.0
	v_fmac_f64_e32 v[36:37], v[36:37], v[16:17]
	v_fma_f64 v[16:17], -v[34:35], v[36:37], 1.0
	v_fmac_f64_e32 v[36:37], v[36:37], v[16:17]
	v_div_scale_f64 v[16:17], vcc, 1.0, v[14:15], 1.0
	v_mul_f64 v[38:39], v[16:17], v[36:37]
	v_fma_f64 v[16:17], -v[34:35], v[38:39], v[16:17]
	s_nop 1
	v_div_fmas_f64 v[16:17], v[16:17], v[36:37], v[38:39]
	v_div_fixup_f64 v[34:35], v[16:17], v[14:15], 1.0
	ds_read_b128 v[14:17], v2 offset:8192
	s_waitcnt lgkmcnt(1)
	v_mul_f64 v[36:37], v[24:25], v[8:9]
	v_fmac_f64_e32 v[36:37], v[6:7], v[22:23]
	v_mul_f64 v[6:7], v[24:25], -v[6:7]
	v_fmac_f64_e32 v[6:7], v[8:9], v[22:23]
	v_mul_f64 v[22:23], v[30:31], -v[12:13]
	v_mul_f64 v[36:37], v[34:35], v[36:37]
	v_mul_f64 v[34:35], v[34:35], v[6:7]
	v_fmac_f64_e32 v[22:23], v[10:11], v[32:33]
	v_mul_f64 v[10:11], v[30:31], v[10:11]
	ds_read_b128 v[6:9], v40 offset:2048
	v_fmac_f64_e32 v[10:11], v[12:13], v[32:33]
	s_waitcnt lgkmcnt(1)
	v_add_f64 v[22:23], v[14:15], -v[22:23]
	v_add_f64 v[24:25], v[16:17], -v[10:11]
	ds_read_b128 v[14:17], v42 offset:32768
	ds_read_b128 v[10:13], v40 offset:34816
	s_waitcnt lgkmcnt(2)
	v_mul_f64 v[38:39], v[34:35], -v[8:9]
	v_mul_f64 v[40:41], v[34:35], v[6:7]
	v_fmac_f64_e32 v[38:39], v[6:7], v[36:37]
	v_fmac_f64_e32 v[40:41], v[8:9], v[36:37]
	v_add_f64 v[6:7], v[22:23], -v[38:39]
	v_add_f64 v[8:9], v[24:25], -v[40:41]
	ds_read_b128 v[22:25], v42
	s_waitcnt lgkmcnt(2)
	v_mul_f64 v[38:39], v[30:31], -v[16:17]
	v_fmac_f64_e32 v[38:39], v[14:15], v[32:33]
	v_mul_f64 v[14:15], v[30:31], v[14:15]
	v_fmac_f64_e32 v[14:15], v[16:17], v[32:33]
	v_add_f64 v[16:17], v[18:19], -v[38:39]
	v_add_f64 v[14:15], v[20:21], -v[14:15]
	s_waitcnt lgkmcnt(1)
	v_mul_f64 v[18:19], v[34:35], -v[12:13]
	v_mul_f64 v[20:21], v[34:35], v[10:11]
	v_fmac_f64_e32 v[18:19], v[10:11], v[36:37]
	v_fmac_f64_e32 v[20:21], v[12:13], v[36:37]
	v_add_f64 v[10:11], v[16:17], -v[18:19]
	v_add_f64 v[12:13], v[14:15], -v[20:21]
	s_waitcnt lgkmcnt(0)
	v_mul_f64 v[14:15], v[30:31], v[24:25]
	v_mul_f64 v[16:17], v[30:31], -v[22:23]
	v_mul_f64 v[18:19], v[34:35], v[28:29]
	v_mul_f64 v[20:21], v[34:35], -v[26:27]
	v_cmp_gt_u32_e32 vcc, s2, v0
	v_fma_f64 v[14:15], -v[22:23], v[32:33], v[14:15]
	v_fma_f64 v[16:17], -v[24:25], v[32:33], v[16:17]
	v_fma_f64 v[18:19], -v[26:27], v[36:37], v[18:19]
	v_fma_f64 v[20:21], -v[28:29], v[36:37], v[20:21]
	s_barrier
	ds_write_b128 v2, v[6:9] offset:8192
	ds_write_b128 v2, v[10:13] offset:32768
	ds_write_b128 v2, v[14:17]
	ds_write_b128 v2, v[18:21] offset:16384
	s_waitcnt lgkmcnt(0)
	s_barrier
	s_and_saveexec_b64 s[6:7], vcc
	s_cbranch_execz .LBB83_2
; %bb.1:
	ds_read_b128 v[6:9], v5 offset:4096
	ds_read_b128 v[10:13], v5
	ds_read_b128 v[14:17], v2 offset:4096
	ds_read_b128 v[18:21], v4
	s_waitcnt lgkmcnt(2)
	v_mul_f64 v[22:23], v[12:13], v[6:7]
	v_mul_f64 v[4:5], v[12:13], -v[8:9]
	s_waitcnt lgkmcnt(0)
	v_mul_f64 v[26:27], v[16:17], v[18:19]
	v_fmac_f64_e32 v[22:23], v[8:9], v[10:11]
	v_mul_f64 v[24:25], v[16:17], -v[20:21]
	v_fmac_f64_e32 v[26:27], v[20:21], v[14:15]
	v_fmac_f64_e32 v[4:5], v[6:7], v[10:11]
	;; [unrolled: 1-line block ×3, first 2 shown]
	v_add_f64 v[26:27], v[22:23], -v[26:27]
	v_add_f64 v[4:5], v[4:5], -v[24:25]
	v_mul_f64 v[22:23], v[26:27], v[26:27]
	v_fmac_f64_e32 v[22:23], v[4:5], v[4:5]
	v_div_scale_f64 v[24:25], s[8:9], v[22:23], v[22:23], 1.0
	v_rcp_f64_e32 v[28:29], v[24:25]
	s_nop 0
	v_fma_f64 v[30:31], -v[24:25], v[28:29], 1.0
	v_fmac_f64_e32 v[28:29], v[28:29], v[30:31]
	v_fma_f64 v[30:31], -v[24:25], v[28:29], 1.0
	v_fmac_f64_e32 v[28:29], v[28:29], v[30:31]
	v_div_scale_f64 v[30:31], vcc, 1.0, v[22:23], 1.0
	v_mul_f64 v[32:33], v[30:31], v[28:29]
	v_fma_f64 v[24:25], -v[24:25], v[32:33], v[30:31]
	v_fma_f64 v[30:31], 0, v[26:27], v[4:5]
	s_nop 0
	v_div_fmas_f64 v[24:25], v[24:25], v[28:29], v[32:33]
	v_div_fixup_f64 v[28:29], v[24:25], v[22:23], 1.0
	ds_read_b128 v[22:25], v3
	v_fma_f64 v[4:5], v[4:5], 0, -v[26:27]
	v_mul_f64 v[30:31], v[30:31], v[28:29]
	v_mul_f64 v[32:33], v[4:5], v[28:29]
	ds_read_b128 v[26:29], v3 offset:4096
	s_waitcnt lgkmcnt(1)
	v_mul_f64 v[4:5], v[24:25], -v[8:9]
	v_fmac_f64_e32 v[4:5], v[6:7], v[22:23]
	v_mul_f64 v[6:7], v[6:7], v[24:25]
	v_fmac_f64_e32 v[6:7], v[8:9], v[22:23]
	s_waitcnt lgkmcnt(0)
	v_mul_f64 v[8:9], v[28:29], -v[20:21]
	v_fmac_f64_e32 v[8:9], v[18:19], v[26:27]
	v_mul_f64 v[18:19], v[18:19], v[28:29]
	v_fmac_f64_e32 v[18:19], v[20:21], v[26:27]
	v_add_f64 v[8:9], v[4:5], -v[8:9]
	v_add_f64 v[18:19], v[6:7], -v[18:19]
	v_mul_f64 v[4:5], v[32:33], -v[18:19]
	v_mul_f64 v[6:7], v[32:33], v[8:9]
	v_fmac_f64_e32 v[4:5], v[8:9], v[30:31]
	v_fmac_f64_e32 v[6:7], v[18:19], v[30:31]
	ds_write_b128 v2, v[4:7] offset:24576
	v_mul_f64 v[4:5], v[12:13], -v[28:29]
	v_mul_f64 v[6:7], v[12:13], v[26:27]
	v_fmac_f64_e32 v[4:5], v[26:27], v[10:11]
	v_fmac_f64_e32 v[6:7], v[28:29], v[10:11]
	v_mul_f64 v[8:9], v[16:17], -v[24:25]
	v_mul_f64 v[10:11], v[16:17], v[22:23]
	v_fmac_f64_e32 v[8:9], v[22:23], v[14:15]
	v_fmac_f64_e32 v[10:11], v[24:25], v[14:15]
	v_add_f64 v[8:9], v[4:5], -v[8:9]
	v_add_f64 v[10:11], v[6:7], -v[10:11]
	v_mul_f64 v[4:5], v[32:33], -v[10:11]
	v_mul_f64 v[6:7], v[32:33], v[8:9]
	v_fmac_f64_e32 v[4:5], v[8:9], v[30:31]
	v_fmac_f64_e32 v[6:7], v[10:11], v[30:31]
	ds_write_b128 v2, v[4:7] offset:28672
.LBB83_2:
	s_or_b64 exec, exec, s[6:7]
	s_waitcnt lgkmcnt(0)
	s_barrier
	s_and_saveexec_b64 s[6:7], s[4:5]
	s_cbranch_execz .LBB83_4
; %bb.3:
	s_load_dword s2, s[0:1], 0x8
	s_load_dwordx2 s[4:5], s[0:1], 0x30
	v_mov_b32_e32 v2, 0x6000
	v_lshl_or_b32 v0, v0, 4, v2
	ds_read2_b64 v[2:5], v0 offset1:1
	s_waitcnt lgkmcnt(0)
	s_mul_i32 s2, s2, s3
	v_add_u32_e32 v0, s2, v1
	v_mov_b32_e32 v1, 0
	v_lshl_add_u64 v[0:1], v[0:1], 4, s[4:5]
	global_store_dwordx4 v[0:1], v[2:5], off
.LBB83_4:
	s_endpgm
	.section	.rodata,"a",@progbits
	.p2align	6, 0x0
	.amdhsa_kernel _ZN9rocsparseL44gtsv_nopivot_strided_batch_pcr_stage2_kernelILj512E21rocsparse_complex_numIdEEEviiiPKT0_S5_S5_S5_PS3_
		.amdhsa_group_segment_fixed_size 40960
		.amdhsa_private_segment_fixed_size 0
		.amdhsa_kernarg_size 312
		.amdhsa_user_sgpr_count 2
		.amdhsa_user_sgpr_dispatch_ptr 0
		.amdhsa_user_sgpr_queue_ptr 0
		.amdhsa_user_sgpr_kernarg_segment_ptr 1
		.amdhsa_user_sgpr_dispatch_id 0
		.amdhsa_user_sgpr_kernarg_preload_length 0
		.amdhsa_user_sgpr_kernarg_preload_offset 0
		.amdhsa_user_sgpr_private_segment_size 0
		.amdhsa_uses_dynamic_stack 0
		.amdhsa_enable_private_segment 0
		.amdhsa_system_sgpr_workgroup_id_x 1
		.amdhsa_system_sgpr_workgroup_id_y 1
		.amdhsa_system_sgpr_workgroup_id_z 0
		.amdhsa_system_sgpr_workgroup_info 0
		.amdhsa_system_vgpr_workitem_id 0
		.amdhsa_next_free_vgpr 60
		.amdhsa_next_free_sgpr 16
		.amdhsa_accum_offset 60
		.amdhsa_reserve_vcc 1
		.amdhsa_float_round_mode_32 0
		.amdhsa_float_round_mode_16_64 0
		.amdhsa_float_denorm_mode_32 3
		.amdhsa_float_denorm_mode_16_64 3
		.amdhsa_dx10_clamp 1
		.amdhsa_ieee_mode 1
		.amdhsa_fp16_overflow 0
		.amdhsa_tg_split 0
		.amdhsa_exception_fp_ieee_invalid_op 0
		.amdhsa_exception_fp_denorm_src 0
		.amdhsa_exception_fp_ieee_div_zero 0
		.amdhsa_exception_fp_ieee_overflow 0
		.amdhsa_exception_fp_ieee_underflow 0
		.amdhsa_exception_fp_ieee_inexact 0
		.amdhsa_exception_int_div_zero 0
	.end_amdhsa_kernel
	.section	.text._ZN9rocsparseL44gtsv_nopivot_strided_batch_pcr_stage2_kernelILj512E21rocsparse_complex_numIdEEEviiiPKT0_S5_S5_S5_PS3_,"axG",@progbits,_ZN9rocsparseL44gtsv_nopivot_strided_batch_pcr_stage2_kernelILj512E21rocsparse_complex_numIdEEEviiiPKT0_S5_S5_S5_PS3_,comdat
.Lfunc_end83:
	.size	_ZN9rocsparseL44gtsv_nopivot_strided_batch_pcr_stage2_kernelILj512E21rocsparse_complex_numIdEEEviiiPKT0_S5_S5_S5_PS3_, .Lfunc_end83-_ZN9rocsparseL44gtsv_nopivot_strided_batch_pcr_stage2_kernelILj512E21rocsparse_complex_numIdEEEviiiPKT0_S5_S5_S5_PS3_
                                        ; -- End function
	.set _ZN9rocsparseL44gtsv_nopivot_strided_batch_pcr_stage2_kernelILj512E21rocsparse_complex_numIdEEEviiiPKT0_S5_S5_S5_PS3_.num_vgpr, 60
	.set _ZN9rocsparseL44gtsv_nopivot_strided_batch_pcr_stage2_kernelILj512E21rocsparse_complex_numIdEEEviiiPKT0_S5_S5_S5_PS3_.num_agpr, 0
	.set _ZN9rocsparseL44gtsv_nopivot_strided_batch_pcr_stage2_kernelILj512E21rocsparse_complex_numIdEEEviiiPKT0_S5_S5_S5_PS3_.numbered_sgpr, 16
	.set _ZN9rocsparseL44gtsv_nopivot_strided_batch_pcr_stage2_kernelILj512E21rocsparse_complex_numIdEEEviiiPKT0_S5_S5_S5_PS3_.num_named_barrier, 0
	.set _ZN9rocsparseL44gtsv_nopivot_strided_batch_pcr_stage2_kernelILj512E21rocsparse_complex_numIdEEEviiiPKT0_S5_S5_S5_PS3_.private_seg_size, 0
	.set _ZN9rocsparseL44gtsv_nopivot_strided_batch_pcr_stage2_kernelILj512E21rocsparse_complex_numIdEEEviiiPKT0_S5_S5_S5_PS3_.uses_vcc, 1
	.set _ZN9rocsparseL44gtsv_nopivot_strided_batch_pcr_stage2_kernelILj512E21rocsparse_complex_numIdEEEviiiPKT0_S5_S5_S5_PS3_.uses_flat_scratch, 0
	.set _ZN9rocsparseL44gtsv_nopivot_strided_batch_pcr_stage2_kernelILj512E21rocsparse_complex_numIdEEEviiiPKT0_S5_S5_S5_PS3_.has_dyn_sized_stack, 0
	.set _ZN9rocsparseL44gtsv_nopivot_strided_batch_pcr_stage2_kernelILj512E21rocsparse_complex_numIdEEEviiiPKT0_S5_S5_S5_PS3_.has_recursion, 0
	.set _ZN9rocsparseL44gtsv_nopivot_strided_batch_pcr_stage2_kernelILj512E21rocsparse_complex_numIdEEEviiiPKT0_S5_S5_S5_PS3_.has_indirect_call, 0
	.section	.AMDGPU.csdata,"",@progbits
; Kernel info:
; codeLenInByte = 6304
; TotalNumSgprs: 22
; NumVgprs: 60
; NumAgprs: 0
; TotalNumVgprs: 60
; ScratchSize: 0
; MemoryBound: 0
; FloatMode: 240
; IeeeMode: 1
; LDSByteSize: 40960 bytes/workgroup (compile time only)
; SGPRBlocks: 2
; VGPRBlocks: 7
; NumSGPRsForWavesPerEU: 22
; NumVGPRsForWavesPerEU: 60
; AccumOffset: 60
; Occupancy: 8
; WaveLimiterHint : 0
; COMPUTE_PGM_RSRC2:SCRATCH_EN: 0
; COMPUTE_PGM_RSRC2:USER_SGPR: 2
; COMPUTE_PGM_RSRC2:TRAP_HANDLER: 0
; COMPUTE_PGM_RSRC2:TGID_X_EN: 1
; COMPUTE_PGM_RSRC2:TGID_Y_EN: 1
; COMPUTE_PGM_RSRC2:TGID_Z_EN: 0
; COMPUTE_PGM_RSRC2:TIDIG_COMP_CNT: 0
; COMPUTE_PGM_RSRC3_GFX90A:ACCUM_OFFSET: 14
; COMPUTE_PGM_RSRC3_GFX90A:TG_SPLIT: 0
	.section	.AMDGPU.gpr_maximums,"",@progbits
	.set amdgpu.max_num_vgpr, 0
	.set amdgpu.max_num_agpr, 0
	.set amdgpu.max_num_sgpr, 0
	.section	.AMDGPU.csdata,"",@progbits
	.type	__hip_cuid_e101374a4909e30e,@object ; @__hip_cuid_e101374a4909e30e
	.section	.bss,"aw",@nobits
	.globl	__hip_cuid_e101374a4909e30e
__hip_cuid_e101374a4909e30e:
	.byte	0                               ; 0x0
	.size	__hip_cuid_e101374a4909e30e, 1

	.ident	"AMD clang version 22.0.0git (https://github.com/RadeonOpenCompute/llvm-project roc-7.2.4 26084 f58b06dce1f9c15707c5f808fd002e18c2accf7e)"
	.section	".note.GNU-stack","",@progbits
	.addrsig
	.addrsig_sym __hip_cuid_e101374a4909e30e
	.amdgpu_metadata
---
amdhsa.kernels:
  - .agpr_count:     0
    .args:
      - .offset:         0
        .size:           4
        .value_kind:     by_value
      - .offset:         4
        .size:           4
        .value_kind:     by_value
      - .offset:         8
        .size:           4
        .value_kind:     by_value
      - .actual_access:  read_only
        .address_space:  global
        .offset:         16
        .size:           8
        .value_kind:     global_buffer
      - .actual_access:  read_only
        .address_space:  global
        .offset:         24
        .size:           8
        .value_kind:     global_buffer
      - .actual_access:  read_only
        .address_space:  global
        .offset:         32
        .size:           8
        .value_kind:     global_buffer
      - .address_space:  global
        .offset:         40
        .size:           8
        .value_kind:     global_buffer
    .group_segment_fixed_size: 76
    .kernarg_segment_align: 8
    .kernarg_segment_size: 48
    .language:       OpenCL C
    .language_version:
      - 2
      - 0
    .max_flat_workgroup_size: 2
    .name:           _ZN9rocsparseL49gtsv_nopivot_strided_batch_pcr_pow2_shared_kernelILj2EfEEviiiPKT0_S3_S3_PS1_
    .private_segment_fixed_size: 0
    .sgpr_count:     18
    .sgpr_spill_count: 0
    .symbol:         _ZN9rocsparseL49gtsv_nopivot_strided_batch_pcr_pow2_shared_kernelILj2EfEEviiiPKT0_S3_S3_PS1_.kd
    .uniform_work_group_size: 1
    .uses_dynamic_stack: false
    .vgpr_count:     16
    .vgpr_spill_count: 0
    .wavefront_size: 64
  - .agpr_count:     0
    .args:
      - .offset:         0
        .size:           4
        .value_kind:     by_value
      - .offset:         4
        .size:           4
        .value_kind:     by_value
      - .offset:         8
        .size:           4
        .value_kind:     by_value
      - .actual_access:  read_only
        .address_space:  global
        .offset:         16
        .size:           8
        .value_kind:     global_buffer
      - .actual_access:  read_only
        .address_space:  global
        .offset:         24
        .size:           8
        .value_kind:     global_buffer
      - .actual_access:  read_only
        .address_space:  global
        .offset:         32
        .size:           8
        .value_kind:     global_buffer
      - .address_space:  global
        .offset:         40
        .size:           8
        .value_kind:     global_buffer
    .group_segment_fixed_size: 148
    .kernarg_segment_align: 8
    .kernarg_segment_size: 48
    .language:       OpenCL C
    .language_version:
      - 2
      - 0
    .max_flat_workgroup_size: 4
    .name:           _ZN9rocsparseL49gtsv_nopivot_strided_batch_pcr_pow2_shared_kernelILj4EfEEviiiPKT0_S3_S3_PS1_
    .private_segment_fixed_size: 0
    .sgpr_count:     18
    .sgpr_spill_count: 0
    .symbol:         _ZN9rocsparseL49gtsv_nopivot_strided_batch_pcr_pow2_shared_kernelILj4EfEEviiiPKT0_S3_S3_PS1_.kd
    .uniform_work_group_size: 1
    .uses_dynamic_stack: false
    .vgpr_count:     26
    .vgpr_spill_count: 0
    .wavefront_size: 64
  - .agpr_count:     0
    .args:
      - .offset:         0
        .size:           4
        .value_kind:     by_value
      - .offset:         4
        .size:           4
        .value_kind:     by_value
      - .offset:         8
        .size:           4
        .value_kind:     by_value
      - .actual_access:  read_only
        .address_space:  global
        .offset:         16
        .size:           8
        .value_kind:     global_buffer
      - .actual_access:  read_only
        .address_space:  global
        .offset:         24
        .size:           8
        .value_kind:     global_buffer
      - .actual_access:  read_only
        .address_space:  global
        .offset:         32
        .size:           8
        .value_kind:     global_buffer
      - .address_space:  global
        .offset:         40
        .size:           8
        .value_kind:     global_buffer
    .group_segment_fixed_size: 228
    .kernarg_segment_align: 8
    .kernarg_segment_size: 48
    .language:       OpenCL C
    .language_version:
      - 2
      - 0
    .max_flat_workgroup_size: 8
    .name:           _ZN9rocsparseL49gtsv_nopivot_strided_batch_pcr_pow2_shared_kernelILj8EfEEviiiPKT0_S3_S3_PS1_
    .private_segment_fixed_size: 0
    .sgpr_count:     18
    .sgpr_spill_count: 0
    .symbol:         _ZN9rocsparseL49gtsv_nopivot_strided_batch_pcr_pow2_shared_kernelILj8EfEEviiiPKT0_S3_S3_PS1_.kd
    .uniform_work_group_size: 1
    .uses_dynamic_stack: false
    .vgpr_count:     28
    .vgpr_spill_count: 0
    .wavefront_size: 64
  - .agpr_count:     0
    .args:
      - .offset:         0
        .size:           4
        .value_kind:     by_value
      - .offset:         4
        .size:           4
        .value_kind:     by_value
      - .offset:         8
        .size:           4
        .value_kind:     by_value
      - .actual_access:  read_only
        .address_space:  global
        .offset:         16
        .size:           8
        .value_kind:     global_buffer
      - .actual_access:  read_only
        .address_space:  global
        .offset:         24
        .size:           8
        .value_kind:     global_buffer
      - .actual_access:  read_only
        .address_space:  global
        .offset:         32
        .size:           8
        .value_kind:     global_buffer
      - .address_space:  global
        .offset:         40
        .size:           8
        .value_kind:     global_buffer
    .group_segment_fixed_size: 388
    .kernarg_segment_align: 8
    .kernarg_segment_size: 48
    .language:       OpenCL C
    .language_version:
      - 2
      - 0
    .max_flat_workgroup_size: 16
    .name:           _ZN9rocsparseL49gtsv_nopivot_strided_batch_pcr_pow2_shared_kernelILj16EfEEviiiPKT0_S3_S3_PS1_
    .private_segment_fixed_size: 0
    .sgpr_count:     18
    .sgpr_spill_count: 0
    .symbol:         _ZN9rocsparseL49gtsv_nopivot_strided_batch_pcr_pow2_shared_kernelILj16EfEEviiiPKT0_S3_S3_PS1_.kd
    .uniform_work_group_size: 1
    .uses_dynamic_stack: false
    .vgpr_count:     30
    .vgpr_spill_count: 0
    .wavefront_size: 64
  - .agpr_count:     0
    .args:
      - .offset:         0
        .size:           4
        .value_kind:     by_value
      - .offset:         4
        .size:           4
        .value_kind:     by_value
      - .offset:         8
        .size:           4
        .value_kind:     by_value
      - .actual_access:  read_only
        .address_space:  global
        .offset:         16
        .size:           8
        .value_kind:     global_buffer
      - .actual_access:  read_only
        .address_space:  global
        .offset:         24
        .size:           8
        .value_kind:     global_buffer
      - .actual_access:  read_only
        .address_space:  global
        .offset:         32
        .size:           8
        .value_kind:     global_buffer
      - .address_space:  global
        .offset:         40
        .size:           8
        .value_kind:     global_buffer
    .group_segment_fixed_size: 708
    .kernarg_segment_align: 8
    .kernarg_segment_size: 48
    .language:       OpenCL C
    .language_version:
      - 2
      - 0
    .max_flat_workgroup_size: 32
    .name:           _ZN9rocsparseL49gtsv_nopivot_strided_batch_pcr_pow2_shared_kernelILj32EfEEviiiPKT0_S3_S3_PS1_
    .private_segment_fixed_size: 0
    .sgpr_count:     18
    .sgpr_spill_count: 0
    .symbol:         _ZN9rocsparseL49gtsv_nopivot_strided_batch_pcr_pow2_shared_kernelILj32EfEEviiiPKT0_S3_S3_PS1_.kd
    .uniform_work_group_size: 1
    .uses_dynamic_stack: false
    .vgpr_count:     30
    .vgpr_spill_count: 0
    .wavefront_size: 64
  - .agpr_count:     0
    .args:
      - .offset:         0
        .size:           4
        .value_kind:     by_value
      - .offset:         4
        .size:           4
        .value_kind:     by_value
      - .offset:         8
        .size:           4
        .value_kind:     by_value
      - .actual_access:  read_only
        .address_space:  global
        .offset:         16
        .size:           8
        .value_kind:     global_buffer
      - .actual_access:  read_only
        .address_space:  global
        .offset:         24
        .size:           8
        .value_kind:     global_buffer
      - .actual_access:  read_only
        .address_space:  global
        .offset:         32
        .size:           8
        .value_kind:     global_buffer
      - .address_space:  global
        .offset:         40
        .size:           8
        .value_kind:     global_buffer
    .group_segment_fixed_size: 1348
    .kernarg_segment_align: 8
    .kernarg_segment_size: 48
    .language:       OpenCL C
    .language_version:
      - 2
      - 0
    .max_flat_workgroup_size: 64
    .name:           _ZN9rocsparseL49gtsv_nopivot_strided_batch_pcr_pow2_shared_kernelILj64EfEEviiiPKT0_S3_S3_PS1_
    .private_segment_fixed_size: 0
    .sgpr_count:     18
    .sgpr_spill_count: 0
    .symbol:         _ZN9rocsparseL49gtsv_nopivot_strided_batch_pcr_pow2_shared_kernelILj64EfEEviiiPKT0_S3_S3_PS1_.kd
    .uniform_work_group_size: 1
    .uses_dynamic_stack: false
    .vgpr_count:     32
    .vgpr_spill_count: 0
    .wavefront_size: 64
  - .agpr_count:     0
    .args:
      - .offset:         0
        .size:           4
        .value_kind:     by_value
      - .offset:         4
        .size:           4
        .value_kind:     by_value
      - .offset:         8
        .size:           4
        .value_kind:     by_value
      - .actual_access:  read_only
        .address_space:  global
        .offset:         16
        .size:           8
        .value_kind:     global_buffer
      - .actual_access:  read_only
        .address_space:  global
        .offset:         24
        .size:           8
        .value_kind:     global_buffer
      - .actual_access:  read_only
        .address_space:  global
        .offset:         32
        .size:           8
        .value_kind:     global_buffer
      - .address_space:  global
        .offset:         40
        .size:           8
        .value_kind:     global_buffer
    .group_segment_fixed_size: 3840
    .kernarg_segment_align: 8
    .kernarg_segment_size: 48
    .language:       OpenCL C
    .language_version:
      - 2
      - 0
    .max_flat_workgroup_size: 64
    .name:           _ZN9rocsparseL51gtsv_nopivot_strided_batch_crpcr_pow2_shared_kernelILj64ELj64EfEEviiiPKT1_S3_S3_PS1_
    .private_segment_fixed_size: 0
    .sgpr_count:     18
    .sgpr_spill_count: 0
    .symbol:         _ZN9rocsparseL51gtsv_nopivot_strided_batch_crpcr_pow2_shared_kernelILj64ELj64EfEEviiiPKT1_S3_S3_PS1_.kd
    .uniform_work_group_size: 1
    .uses_dynamic_stack: false
    .vgpr_count:     30
    .vgpr_spill_count: 0
    .wavefront_size: 64
  - .agpr_count:     0
    .args:
      - .offset:         0
        .size:           4
        .value_kind:     by_value
      - .offset:         4
        .size:           4
        .value_kind:     by_value
      - .offset:         8
        .size:           4
        .value_kind:     by_value
      - .actual_access:  read_only
        .address_space:  global
        .offset:         16
        .size:           8
        .value_kind:     global_buffer
      - .actual_access:  read_only
        .address_space:  global
        .offset:         24
        .size:           8
        .value_kind:     global_buffer
      - .actual_access:  read_only
        .address_space:  global
        .offset:         32
        .size:           8
        .value_kind:     global_buffer
      - .address_space:  global
        .offset:         40
        .size:           8
        .value_kind:     global_buffer
    .group_segment_fixed_size: 6400
    .kernarg_segment_align: 8
    .kernarg_segment_size: 48
    .language:       OpenCL C
    .language_version:
      - 2
      - 0
    .max_flat_workgroup_size: 128
    .name:           _ZN9rocsparseL51gtsv_nopivot_strided_batch_crpcr_pow2_shared_kernelILj128ELj64EfEEviiiPKT1_S3_S3_PS1_
    .private_segment_fixed_size: 0
    .sgpr_count:     18
    .sgpr_spill_count: 0
    .symbol:         _ZN9rocsparseL51gtsv_nopivot_strided_batch_crpcr_pow2_shared_kernelILj128ELj64EfEEviiiPKT1_S3_S3_PS1_.kd
    .uniform_work_group_size: 1
    .uses_dynamic_stack: false
    .vgpr_count:     29
    .vgpr_spill_count: 0
    .wavefront_size: 64
  - .agpr_count:     0
    .args:
      - .offset:         0
        .size:           4
        .value_kind:     by_value
      - .offset:         4
        .size:           4
        .value_kind:     by_value
      - .offset:         8
        .size:           4
        .value_kind:     by_value
      - .actual_access:  read_only
        .address_space:  global
        .offset:         16
        .size:           8
        .value_kind:     global_buffer
      - .actual_access:  read_only
        .address_space:  global
        .offset:         24
        .size:           8
        .value_kind:     global_buffer
      - .actual_access:  read_only
        .address_space:  global
        .offset:         32
        .size:           8
        .value_kind:     global_buffer
      - .address_space:  global
        .offset:         40
        .size:           8
        .value_kind:     global_buffer
    .group_segment_fixed_size: 11520
    .kernarg_segment_align: 8
    .kernarg_segment_size: 48
    .language:       OpenCL C
    .language_version:
      - 2
      - 0
    .max_flat_workgroup_size: 256
    .name:           _ZN9rocsparseL51gtsv_nopivot_strided_batch_crpcr_pow2_shared_kernelILj256ELj64EfEEviiiPKT1_S3_S3_PS1_
    .private_segment_fixed_size: 0
    .sgpr_count:     18
    .sgpr_spill_count: 0
    .symbol:         _ZN9rocsparseL51gtsv_nopivot_strided_batch_crpcr_pow2_shared_kernelILj256ELj64EfEEviiiPKT1_S3_S3_PS1_.kd
    .uniform_work_group_size: 1
    .uses_dynamic_stack: false
    .vgpr_count:     29
    .vgpr_spill_count: 0
    .wavefront_size: 64
  - .agpr_count:     0
    .args:
      - .offset:         0
        .size:           4
        .value_kind:     by_value
      - .offset:         4
        .size:           4
        .value_kind:     by_value
      - .offset:         8
        .size:           4
        .value_kind:     by_value
      - .actual_access:  read_only
        .address_space:  global
        .offset:         16
        .size:           8
        .value_kind:     global_buffer
      - .actual_access:  read_only
        .address_space:  global
        .offset:         24
        .size:           8
        .value_kind:     global_buffer
      - .actual_access:  read_only
        .address_space:  global
        .offset:         32
        .size:           8
        .value_kind:     global_buffer
      - .address_space:  global
        .offset:         40
        .size:           8
        .value_kind:     global_buffer
    .group_segment_fixed_size: 80
    .kernarg_segment_align: 8
    .kernarg_segment_size: 48
    .language:       OpenCL C
    .language_version:
      - 2
      - 0
    .max_flat_workgroup_size: 4
    .name:           _ZN9rocsparseL44gtsv_nopivot_strided_batch_pcr_shared_kernelILj4EfEEviiiPKT0_S3_S3_PS1_
    .private_segment_fixed_size: 0
    .sgpr_count:     16
    .sgpr_spill_count: 0
    .symbol:         _ZN9rocsparseL44gtsv_nopivot_strided_batch_pcr_shared_kernelILj4EfEEviiiPKT0_S3_S3_PS1_.kd
    .uniform_work_group_size: 1
    .uses_dynamic_stack: false
    .vgpr_count:     23
    .vgpr_spill_count: 0
    .wavefront_size: 64
  - .agpr_count:     0
    .args:
      - .offset:         0
        .size:           4
        .value_kind:     by_value
      - .offset:         4
        .size:           4
        .value_kind:     by_value
      - .offset:         8
        .size:           4
        .value_kind:     by_value
      - .actual_access:  read_only
        .address_space:  global
        .offset:         16
        .size:           8
        .value_kind:     global_buffer
      - .actual_access:  read_only
        .address_space:  global
        .offset:         24
        .size:           8
        .value_kind:     global_buffer
      - .actual_access:  read_only
        .address_space:  global
        .offset:         32
        .size:           8
        .value_kind:     global_buffer
      - .address_space:  global
        .offset:         40
        .size:           8
        .value_kind:     global_buffer
    .group_segment_fixed_size: 160
    .kernarg_segment_align: 8
    .kernarg_segment_size: 48
    .language:       OpenCL C
    .language_version:
      - 2
      - 0
    .max_flat_workgroup_size: 8
    .name:           _ZN9rocsparseL44gtsv_nopivot_strided_batch_pcr_shared_kernelILj8EfEEviiiPKT0_S3_S3_PS1_
    .private_segment_fixed_size: 0
    .sgpr_count:     16
    .sgpr_spill_count: 0
    .symbol:         _ZN9rocsparseL44gtsv_nopivot_strided_batch_pcr_shared_kernelILj8EfEEviiiPKT0_S3_S3_PS1_.kd
    .uniform_work_group_size: 1
    .uses_dynamic_stack: false
    .vgpr_count:     21
    .vgpr_spill_count: 0
    .wavefront_size: 64
  - .agpr_count:     0
    .args:
      - .offset:         0
        .size:           4
        .value_kind:     by_value
      - .offset:         4
        .size:           4
        .value_kind:     by_value
      - .offset:         8
        .size:           4
        .value_kind:     by_value
      - .actual_access:  read_only
        .address_space:  global
        .offset:         16
        .size:           8
        .value_kind:     global_buffer
      - .actual_access:  read_only
        .address_space:  global
        .offset:         24
        .size:           8
        .value_kind:     global_buffer
      - .actual_access:  read_only
        .address_space:  global
        .offset:         32
        .size:           8
        .value_kind:     global_buffer
      - .address_space:  global
        .offset:         40
        .size:           8
        .value_kind:     global_buffer
    .group_segment_fixed_size: 320
    .kernarg_segment_align: 8
    .kernarg_segment_size: 48
    .language:       OpenCL C
    .language_version:
      - 2
      - 0
    .max_flat_workgroup_size: 16
    .name:           _ZN9rocsparseL44gtsv_nopivot_strided_batch_pcr_shared_kernelILj16EfEEviiiPKT0_S3_S3_PS1_
    .private_segment_fixed_size: 0
    .sgpr_count:     16
    .sgpr_spill_count: 0
    .symbol:         _ZN9rocsparseL44gtsv_nopivot_strided_batch_pcr_shared_kernelILj16EfEEviiiPKT0_S3_S3_PS1_.kd
    .uniform_work_group_size: 1
    .uses_dynamic_stack: false
    .vgpr_count:     21
    .vgpr_spill_count: 0
    .wavefront_size: 64
  - .agpr_count:     0
    .args:
      - .offset:         0
        .size:           4
        .value_kind:     by_value
      - .offset:         4
        .size:           4
        .value_kind:     by_value
      - .offset:         8
        .size:           4
        .value_kind:     by_value
      - .actual_access:  read_only
        .address_space:  global
        .offset:         16
        .size:           8
        .value_kind:     global_buffer
      - .actual_access:  read_only
        .address_space:  global
        .offset:         24
        .size:           8
        .value_kind:     global_buffer
      - .actual_access:  read_only
        .address_space:  global
        .offset:         32
        .size:           8
        .value_kind:     global_buffer
      - .address_space:  global
        .offset:         40
        .size:           8
        .value_kind:     global_buffer
    .group_segment_fixed_size: 640
    .kernarg_segment_align: 8
    .kernarg_segment_size: 48
    .language:       OpenCL C
    .language_version:
      - 2
      - 0
    .max_flat_workgroup_size: 32
    .name:           _ZN9rocsparseL44gtsv_nopivot_strided_batch_pcr_shared_kernelILj32EfEEviiiPKT0_S3_S3_PS1_
    .private_segment_fixed_size: 0
    .sgpr_count:     16
    .sgpr_spill_count: 0
    .symbol:         _ZN9rocsparseL44gtsv_nopivot_strided_batch_pcr_shared_kernelILj32EfEEviiiPKT0_S3_S3_PS1_.kd
    .uniform_work_group_size: 1
    .uses_dynamic_stack: false
    .vgpr_count:     21
    .vgpr_spill_count: 0
    .wavefront_size: 64
  - .agpr_count:     0
    .args:
      - .offset:         0
        .size:           4
        .value_kind:     by_value
      - .offset:         4
        .size:           4
        .value_kind:     by_value
      - .offset:         8
        .size:           4
        .value_kind:     by_value
      - .actual_access:  read_only
        .address_space:  global
        .offset:         16
        .size:           8
        .value_kind:     global_buffer
      - .actual_access:  read_only
        .address_space:  global
        .offset:         24
        .size:           8
        .value_kind:     global_buffer
      - .actual_access:  read_only
        .address_space:  global
        .offset:         32
        .size:           8
        .value_kind:     global_buffer
      - .address_space:  global
        .offset:         40
        .size:           8
        .value_kind:     global_buffer
    .group_segment_fixed_size: 1280
    .kernarg_segment_align: 8
    .kernarg_segment_size: 48
    .language:       OpenCL C
    .language_version:
      - 2
      - 0
    .max_flat_workgroup_size: 64
    .name:           _ZN9rocsparseL44gtsv_nopivot_strided_batch_pcr_shared_kernelILj64EfEEviiiPKT0_S3_S3_PS1_
    .private_segment_fixed_size: 0
    .sgpr_count:     16
    .sgpr_spill_count: 0
    .symbol:         _ZN9rocsparseL44gtsv_nopivot_strided_batch_pcr_shared_kernelILj64EfEEviiiPKT0_S3_S3_PS1_.kd
    .uniform_work_group_size: 1
    .uses_dynamic_stack: false
    .vgpr_count:     21
    .vgpr_spill_count: 0
    .wavefront_size: 64
  - .agpr_count:     0
    .args:
      - .offset:         0
        .size:           4
        .value_kind:     by_value
      - .offset:         4
        .size:           4
        .value_kind:     by_value
      - .offset:         8
        .size:           4
        .value_kind:     by_value
      - .actual_access:  read_only
        .address_space:  global
        .offset:         16
        .size:           8
        .value_kind:     global_buffer
      - .actual_access:  read_only
        .address_space:  global
        .offset:         24
        .size:           8
        .value_kind:     global_buffer
      - .actual_access:  read_only
        .address_space:  global
        .offset:         32
        .size:           8
        .value_kind:     global_buffer
      - .address_space:  global
        .offset:         40
        .size:           8
        .value_kind:     global_buffer
    .group_segment_fixed_size: 2560
    .kernarg_segment_align: 8
    .kernarg_segment_size: 48
    .language:       OpenCL C
    .language_version:
      - 2
      - 0
    .max_flat_workgroup_size: 128
    .name:           _ZN9rocsparseL44gtsv_nopivot_strided_batch_pcr_shared_kernelILj128EfEEviiiPKT0_S3_S3_PS1_
    .private_segment_fixed_size: 0
    .sgpr_count:     16
    .sgpr_spill_count: 0
    .symbol:         _ZN9rocsparseL44gtsv_nopivot_strided_batch_pcr_shared_kernelILj128EfEEviiiPKT0_S3_S3_PS1_.kd
    .uniform_work_group_size: 1
    .uses_dynamic_stack: false
    .vgpr_count:     21
    .vgpr_spill_count: 0
    .wavefront_size: 64
  - .agpr_count:     0
    .args:
      - .offset:         0
        .size:           4
        .value_kind:     by_value
      - .offset:         4
        .size:           4
        .value_kind:     by_value
      - .offset:         8
        .size:           4
        .value_kind:     by_value
      - .actual_access:  read_only
        .address_space:  global
        .offset:         16
        .size:           8
        .value_kind:     global_buffer
      - .actual_access:  read_only
        .address_space:  global
        .offset:         24
        .size:           8
        .value_kind:     global_buffer
      - .actual_access:  read_only
        .address_space:  global
        .offset:         32
        .size:           8
        .value_kind:     global_buffer
      - .address_space:  global
        .offset:         40
        .size:           8
        .value_kind:     global_buffer
    .group_segment_fixed_size: 5120
    .kernarg_segment_align: 8
    .kernarg_segment_size: 48
    .language:       OpenCL C
    .language_version:
      - 2
      - 0
    .max_flat_workgroup_size: 256
    .name:           _ZN9rocsparseL44gtsv_nopivot_strided_batch_pcr_shared_kernelILj256EfEEviiiPKT0_S3_S3_PS1_
    .private_segment_fixed_size: 0
    .sgpr_count:     16
    .sgpr_spill_count: 0
    .symbol:         _ZN9rocsparseL44gtsv_nopivot_strided_batch_pcr_shared_kernelILj256EfEEviiiPKT0_S3_S3_PS1_.kd
    .uniform_work_group_size: 1
    .uses_dynamic_stack: false
    .vgpr_count:     21
    .vgpr_spill_count: 0
    .wavefront_size: 64
  - .agpr_count:     0
    .args:
      - .offset:         0
        .size:           4
        .value_kind:     by_value
      - .offset:         4
        .size:           4
        .value_kind:     by_value
      - .offset:         8
        .size:           4
        .value_kind:     by_value
      - .actual_access:  read_only
        .address_space:  global
        .offset:         16
        .size:           8
        .value_kind:     global_buffer
      - .actual_access:  read_only
        .address_space:  global
        .offset:         24
        .size:           8
        .value_kind:     global_buffer
      - .actual_access:  read_only
        .address_space:  global
        .offset:         32
        .size:           8
        .value_kind:     global_buffer
      - .address_space:  global
        .offset:         40
        .size:           8
        .value_kind:     global_buffer
    .group_segment_fixed_size: 10240
    .kernarg_segment_align: 8
    .kernarg_segment_size: 48
    .language:       OpenCL C
    .language_version:
      - 2
      - 0
    .max_flat_workgroup_size: 512
    .name:           _ZN9rocsparseL44gtsv_nopivot_strided_batch_pcr_shared_kernelILj512EfEEviiiPKT0_S3_S3_PS1_
    .private_segment_fixed_size: 0
    .sgpr_count:     16
    .sgpr_spill_count: 0
    .symbol:         _ZN9rocsparseL44gtsv_nopivot_strided_batch_pcr_shared_kernelILj512EfEEviiiPKT0_S3_S3_PS1_.kd
    .uniform_work_group_size: 1
    .uses_dynamic_stack: false
    .vgpr_count:     21
    .vgpr_spill_count: 0
    .wavefront_size: 64
  - .agpr_count:     0
    .args:
      - .offset:         0
        .size:           4
        .value_kind:     by_value
      - .offset:         4
        .size:           4
        .value_kind:     by_value
      - .offset:         8
        .size:           4
        .value_kind:     by_value
      - .offset:         12
        .size:           4
        .value_kind:     by_value
      - .actual_access:  read_only
        .address_space:  global
        .offset:         16
        .size:           8
        .value_kind:     global_buffer
      - .actual_access:  read_only
        .address_space:  global
        .offset:         24
        .size:           8
        .value_kind:     global_buffer
      - .actual_access:  read_only
        .address_space:  global
        .offset:         32
        .size:           8
        .value_kind:     global_buffer
      - .actual_access:  read_only
        .address_space:  global
        .offset:         40
        .size:           8
        .value_kind:     global_buffer
      - .actual_access:  write_only
        .address_space:  global
        .offset:         48
        .size:           8
        .value_kind:     global_buffer
      - .actual_access:  write_only
        .address_space:  global
        .offset:         56
        .size:           8
        .value_kind:     global_buffer
      - .actual_access:  write_only
        .address_space:  global
        .offset:         64
        .size:           8
        .value_kind:     global_buffer
      - .actual_access:  write_only
        .address_space:  global
        .offset:         72
        .size:           8
        .value_kind:     global_buffer
    .group_segment_fixed_size: 0
    .kernarg_segment_align: 8
    .kernarg_segment_size: 80
    .language:       OpenCL C
    .language_version:
      - 2
      - 0
    .max_flat_workgroup_size: 256
    .name:           _ZN9rocsparseL49gtsv_nopivot_strided_batch_pcr_pow2_stage1_kernelILj256EfEEviiiiPKT0_S3_S3_S3_PS1_S4_S4_S4_
    .private_segment_fixed_size: 0
    .sgpr_count:     31
    .sgpr_spill_count: 0
    .symbol:         _ZN9rocsparseL49gtsv_nopivot_strided_batch_pcr_pow2_stage1_kernelILj256EfEEviiiiPKT0_S3_S3_S3_PS1_S4_S4_S4_.kd
    .uniform_work_group_size: 1
    .uses_dynamic_stack: false
    .vgpr_count:     29
    .vgpr_spill_count: 0
    .wavefront_size: 64
  - .agpr_count:     0
    .args:
      - .offset:         0
        .size:           4
        .value_kind:     by_value
      - .offset:         4
        .size:           4
        .value_kind:     by_value
      - .offset:         8
        .size:           4
        .value_kind:     by_value
      - .actual_access:  read_only
        .address_space:  global
        .offset:         16
        .size:           8
        .value_kind:     global_buffer
      - .actual_access:  read_only
        .address_space:  global
        .offset:         24
        .size:           8
        .value_kind:     global_buffer
      - .actual_access:  read_only
        .address_space:  global
        .offset:         32
        .size:           8
        .value_kind:     global_buffer
      - .actual_access:  read_only
        .address_space:  global
        .offset:         40
        .size:           8
        .value_kind:     global_buffer
      - .actual_access:  write_only
        .address_space:  global
        .offset:         48
        .size:           8
        .value_kind:     global_buffer
      - .offset:         56
        .size:           4
        .value_kind:     hidden_block_count_x
      - .offset:         60
        .size:           4
        .value_kind:     hidden_block_count_y
      - .offset:         64
        .size:           4
        .value_kind:     hidden_block_count_z
      - .offset:         68
        .size:           2
        .value_kind:     hidden_group_size_x
      - .offset:         70
        .size:           2
        .value_kind:     hidden_group_size_y
      - .offset:         72
        .size:           2
        .value_kind:     hidden_group_size_z
      - .offset:         74
        .size:           2
        .value_kind:     hidden_remainder_x
      - .offset:         76
        .size:           2
        .value_kind:     hidden_remainder_y
      - .offset:         78
        .size:           2
        .value_kind:     hidden_remainder_z
      - .offset:         96
        .size:           8
        .value_kind:     hidden_global_offset_x
      - .offset:         104
        .size:           8
        .value_kind:     hidden_global_offset_y
      - .offset:         112
        .size:           8
        .value_kind:     hidden_global_offset_z
      - .offset:         120
        .size:           2
        .value_kind:     hidden_grid_dims
    .group_segment_fixed_size: 10240
    .kernarg_segment_align: 8
    .kernarg_segment_size: 312
    .language:       OpenCL C
    .language_version:
      - 2
      - 0
    .max_flat_workgroup_size: 256
    .name:           _ZN9rocsparseL48gtsv_nopivot_strided_batch_cr_pow2_stage2_kernelILj256EfEEviiiPKT0_S3_S3_S3_PS1_
    .private_segment_fixed_size: 0
    .sgpr_count:     32
    .sgpr_spill_count: 0
    .symbol:         _ZN9rocsparseL48gtsv_nopivot_strided_batch_cr_pow2_stage2_kernelILj256EfEEviiiPKT0_S3_S3_S3_PS1_.kd
    .uniform_work_group_size: 1
    .uses_dynamic_stack: false
    .vgpr_count:     24
    .vgpr_spill_count: 0
    .wavefront_size: 64
  - .agpr_count:     0
    .args:
      - .offset:         0
        .size:           4
        .value_kind:     by_value
      - .offset:         4
        .size:           4
        .value_kind:     by_value
      - .offset:         8
        .size:           4
        .value_kind:     by_value
      - .offset:         12
        .size:           4
        .value_kind:     by_value
      - .actual_access:  read_only
        .address_space:  global
        .offset:         16
        .size:           8
        .value_kind:     global_buffer
      - .actual_access:  read_only
        .address_space:  global
        .offset:         24
        .size:           8
        .value_kind:     global_buffer
      - .actual_access:  read_only
        .address_space:  global
        .offset:         32
        .size:           8
        .value_kind:     global_buffer
      - .actual_access:  read_only
        .address_space:  global
        .offset:         40
        .size:           8
        .value_kind:     global_buffer
      - .actual_access:  write_only
        .address_space:  global
        .offset:         48
        .size:           8
        .value_kind:     global_buffer
      - .actual_access:  write_only
        .address_space:  global
        .offset:         56
        .size:           8
        .value_kind:     global_buffer
      - .actual_access:  write_only
        .address_space:  global
        .offset:         64
        .size:           8
        .value_kind:     global_buffer
      - .actual_access:  write_only
        .address_space:  global
        .offset:         72
        .size:           8
        .value_kind:     global_buffer
    .group_segment_fixed_size: 0
    .kernarg_segment_align: 8
    .kernarg_segment_size: 80
    .language:       OpenCL C
    .language_version:
      - 2
      - 0
    .max_flat_workgroup_size: 256
    .name:           _ZN9rocsparseL44gtsv_nopivot_strided_batch_pcr_stage1_kernelILj256EfEEviiiiPKT0_S3_S3_S3_PS1_S4_S4_S4_
    .private_segment_fixed_size: 0
    .sgpr_count:     32
    .sgpr_spill_count: 0
    .symbol:         _ZN9rocsparseL44gtsv_nopivot_strided_batch_pcr_stage1_kernelILj256EfEEviiiiPKT0_S3_S3_S3_PS1_S4_S4_S4_.kd
    .uniform_work_group_size: 1
    .uses_dynamic_stack: false
    .vgpr_count:     28
    .vgpr_spill_count: 0
    .wavefront_size: 64
  - .agpr_count:     0
    .args:
      - .offset:         0
        .size:           4
        .value_kind:     by_value
      - .offset:         4
        .size:           4
        .value_kind:     by_value
      - .offset:         8
        .size:           4
        .value_kind:     by_value
      - .actual_access:  read_only
        .address_space:  global
        .offset:         16
        .size:           8
        .value_kind:     global_buffer
      - .actual_access:  read_only
        .address_space:  global
        .offset:         24
        .size:           8
        .value_kind:     global_buffer
      - .actual_access:  read_only
        .address_space:  global
        .offset:         32
        .size:           8
        .value_kind:     global_buffer
      - .actual_access:  read_only
        .address_space:  global
        .offset:         40
        .size:           8
        .value_kind:     global_buffer
      - .actual_access:  write_only
        .address_space:  global
        .offset:         48
        .size:           8
        .value_kind:     global_buffer
      - .offset:         56
        .size:           4
        .value_kind:     hidden_block_count_x
      - .offset:         60
        .size:           4
        .value_kind:     hidden_block_count_y
      - .offset:         64
        .size:           4
        .value_kind:     hidden_block_count_z
      - .offset:         68
        .size:           2
        .value_kind:     hidden_group_size_x
      - .offset:         70
        .size:           2
        .value_kind:     hidden_group_size_y
      - .offset:         72
        .size:           2
        .value_kind:     hidden_group_size_z
      - .offset:         74
        .size:           2
        .value_kind:     hidden_remainder_x
      - .offset:         76
        .size:           2
        .value_kind:     hidden_remainder_y
      - .offset:         78
        .size:           2
        .value_kind:     hidden_remainder_z
      - .offset:         96
        .size:           8
        .value_kind:     hidden_global_offset_x
      - .offset:         104
        .size:           8
        .value_kind:     hidden_global_offset_y
      - .offset:         112
        .size:           8
        .value_kind:     hidden_global_offset_z
      - .offset:         120
        .size:           2
        .value_kind:     hidden_grid_dims
    .group_segment_fixed_size: 10240
    .kernarg_segment_align: 8
    .kernarg_segment_size: 312
    .language:       OpenCL C
    .language_version:
      - 2
      - 0
    .max_flat_workgroup_size: 512
    .name:           _ZN9rocsparseL44gtsv_nopivot_strided_batch_pcr_stage2_kernelILj512EfEEviiiPKT0_S3_S3_S3_PS1_
    .private_segment_fixed_size: 0
    .sgpr_count:     22
    .sgpr_spill_count: 0
    .symbol:         _ZN9rocsparseL44gtsv_nopivot_strided_batch_pcr_stage2_kernelILj512EfEEviiiPKT0_S3_S3_S3_PS1_.kd
    .uniform_work_group_size: 1
    .uses_dynamic_stack: false
    .vgpr_count:     27
    .vgpr_spill_count: 0
    .wavefront_size: 64
  - .agpr_count:     0
    .args:
      - .offset:         0
        .size:           4
        .value_kind:     by_value
      - .offset:         4
        .size:           4
        .value_kind:     by_value
      - .offset:         8
        .size:           4
        .value_kind:     by_value
      - .actual_access:  read_only
        .address_space:  global
        .offset:         16
        .size:           8
        .value_kind:     global_buffer
      - .actual_access:  read_only
        .address_space:  global
        .offset:         24
        .size:           8
        .value_kind:     global_buffer
      - .actual_access:  read_only
        .address_space:  global
        .offset:         32
        .size:           8
        .value_kind:     global_buffer
      - .address_space:  global
        .offset:         40
        .size:           8
        .value_kind:     global_buffer
    .group_segment_fixed_size: 152
    .kernarg_segment_align: 8
    .kernarg_segment_size: 48
    .language:       OpenCL C
    .language_version:
      - 2
      - 0
    .max_flat_workgroup_size: 2
    .name:           _ZN9rocsparseL49gtsv_nopivot_strided_batch_pcr_pow2_shared_kernelILj2EdEEviiiPKT0_S3_S3_PS1_
    .private_segment_fixed_size: 0
    .sgpr_count:     18
    .sgpr_spill_count: 0
    .symbol:         _ZN9rocsparseL49gtsv_nopivot_strided_batch_pcr_pow2_shared_kernelILj2EdEEviiiPKT0_S3_S3_PS1_.kd
    .uniform_work_group_size: 1
    .uses_dynamic_stack: false
    .vgpr_count:     27
    .vgpr_spill_count: 0
    .wavefront_size: 64
  - .agpr_count:     0
    .args:
      - .offset:         0
        .size:           4
        .value_kind:     by_value
      - .offset:         4
        .size:           4
        .value_kind:     by_value
      - .offset:         8
        .size:           4
        .value_kind:     by_value
      - .actual_access:  read_only
        .address_space:  global
        .offset:         16
        .size:           8
        .value_kind:     global_buffer
      - .actual_access:  read_only
        .address_space:  global
        .offset:         24
        .size:           8
        .value_kind:     global_buffer
      - .actual_access:  read_only
        .address_space:  global
        .offset:         32
        .size:           8
        .value_kind:     global_buffer
      - .address_space:  global
        .offset:         40
        .size:           8
        .value_kind:     global_buffer
    .group_segment_fixed_size: 232
    .kernarg_segment_align: 8
    .kernarg_segment_size: 48
    .language:       OpenCL C
    .language_version:
      - 2
      - 0
    .max_flat_workgroup_size: 4
    .name:           _ZN9rocsparseL49gtsv_nopivot_strided_batch_pcr_pow2_shared_kernelILj4EdEEviiiPKT0_S3_S3_PS1_
    .private_segment_fixed_size: 0
    .sgpr_count:     18
    .sgpr_spill_count: 0
    .symbol:         _ZN9rocsparseL49gtsv_nopivot_strided_batch_pcr_pow2_shared_kernelILj4EdEEviiiPKT0_S3_S3_PS1_.kd
    .uniform_work_group_size: 1
    .uses_dynamic_stack: false
    .vgpr_count:     44
    .vgpr_spill_count: 0
    .wavefront_size: 64
  - .agpr_count:     0
    .args:
      - .offset:         0
        .size:           4
        .value_kind:     by_value
      - .offset:         4
        .size:           4
        .value_kind:     by_value
      - .offset:         8
        .size:           4
        .value_kind:     by_value
      - .actual_access:  read_only
        .address_space:  global
        .offset:         16
        .size:           8
        .value_kind:     global_buffer
      - .actual_access:  read_only
        .address_space:  global
        .offset:         24
        .size:           8
        .value_kind:     global_buffer
      - .actual_access:  read_only
        .address_space:  global
        .offset:         32
        .size:           8
        .value_kind:     global_buffer
      - .address_space:  global
        .offset:         40
        .size:           8
        .value_kind:     global_buffer
    .group_segment_fixed_size: 392
    .kernarg_segment_align: 8
    .kernarg_segment_size: 48
    .language:       OpenCL C
    .language_version:
      - 2
      - 0
    .max_flat_workgroup_size: 8
    .name:           _ZN9rocsparseL49gtsv_nopivot_strided_batch_pcr_pow2_shared_kernelILj8EdEEviiiPKT0_S3_S3_PS1_
    .private_segment_fixed_size: 0
    .sgpr_count:     18
    .sgpr_spill_count: 0
    .symbol:         _ZN9rocsparseL49gtsv_nopivot_strided_batch_pcr_pow2_shared_kernelILj8EdEEviiiPKT0_S3_S3_PS1_.kd
    .uniform_work_group_size: 1
    .uses_dynamic_stack: false
    .vgpr_count:     46
    .vgpr_spill_count: 0
    .wavefront_size: 64
  - .agpr_count:     0
    .args:
      - .offset:         0
        .size:           4
        .value_kind:     by_value
      - .offset:         4
        .size:           4
        .value_kind:     by_value
      - .offset:         8
        .size:           4
        .value_kind:     by_value
      - .actual_access:  read_only
        .address_space:  global
        .offset:         16
        .size:           8
        .value_kind:     global_buffer
      - .actual_access:  read_only
        .address_space:  global
        .offset:         24
        .size:           8
        .value_kind:     global_buffer
      - .actual_access:  read_only
        .address_space:  global
        .offset:         32
        .size:           8
        .value_kind:     global_buffer
      - .address_space:  global
        .offset:         40
        .size:           8
        .value_kind:     global_buffer
    .group_segment_fixed_size: 712
    .kernarg_segment_align: 8
    .kernarg_segment_size: 48
    .language:       OpenCL C
    .language_version:
      - 2
      - 0
    .max_flat_workgroup_size: 16
    .name:           _ZN9rocsparseL49gtsv_nopivot_strided_batch_pcr_pow2_shared_kernelILj16EdEEviiiPKT0_S3_S3_PS1_
    .private_segment_fixed_size: 0
    .sgpr_count:     18
    .sgpr_spill_count: 0
    .symbol:         _ZN9rocsparseL49gtsv_nopivot_strided_batch_pcr_pow2_shared_kernelILj16EdEEviiiPKT0_S3_S3_PS1_.kd
    .uniform_work_group_size: 1
    .uses_dynamic_stack: false
    .vgpr_count:     48
    .vgpr_spill_count: 0
    .wavefront_size: 64
  - .agpr_count:     0
    .args:
      - .offset:         0
        .size:           4
        .value_kind:     by_value
      - .offset:         4
        .size:           4
        .value_kind:     by_value
      - .offset:         8
        .size:           4
        .value_kind:     by_value
      - .actual_access:  read_only
        .address_space:  global
        .offset:         16
        .size:           8
        .value_kind:     global_buffer
      - .actual_access:  read_only
        .address_space:  global
        .offset:         24
        .size:           8
        .value_kind:     global_buffer
      - .actual_access:  read_only
        .address_space:  global
        .offset:         32
        .size:           8
        .value_kind:     global_buffer
      - .address_space:  global
        .offset:         40
        .size:           8
        .value_kind:     global_buffer
    .group_segment_fixed_size: 1352
    .kernarg_segment_align: 8
    .kernarg_segment_size: 48
    .language:       OpenCL C
    .language_version:
      - 2
      - 0
    .max_flat_workgroup_size: 32
    .name:           _ZN9rocsparseL49gtsv_nopivot_strided_batch_pcr_pow2_shared_kernelILj32EdEEviiiPKT0_S3_S3_PS1_
    .private_segment_fixed_size: 0
    .sgpr_count:     18
    .sgpr_spill_count: 0
    .symbol:         _ZN9rocsparseL49gtsv_nopivot_strided_batch_pcr_pow2_shared_kernelILj32EdEEviiiPKT0_S3_S3_PS1_.kd
    .uniform_work_group_size: 1
    .uses_dynamic_stack: false
    .vgpr_count:     48
    .vgpr_spill_count: 0
    .wavefront_size: 64
  - .agpr_count:     0
    .args:
      - .offset:         0
        .size:           4
        .value_kind:     by_value
      - .offset:         4
        .size:           4
        .value_kind:     by_value
      - .offset:         8
        .size:           4
        .value_kind:     by_value
      - .actual_access:  read_only
        .address_space:  global
        .offset:         16
        .size:           8
        .value_kind:     global_buffer
      - .actual_access:  read_only
        .address_space:  global
        .offset:         24
        .size:           8
        .value_kind:     global_buffer
      - .actual_access:  read_only
        .address_space:  global
        .offset:         32
        .size:           8
        .value_kind:     global_buffer
      - .address_space:  global
        .offset:         40
        .size:           8
        .value_kind:     global_buffer
    .group_segment_fixed_size: 2632
    .kernarg_segment_align: 8
    .kernarg_segment_size: 48
    .language:       OpenCL C
    .language_version:
      - 2
      - 0
    .max_flat_workgroup_size: 64
    .name:           _ZN9rocsparseL49gtsv_nopivot_strided_batch_pcr_pow2_shared_kernelILj64EdEEviiiPKT0_S3_S3_PS1_
    .private_segment_fixed_size: 0
    .sgpr_count:     18
    .sgpr_spill_count: 0
    .symbol:         _ZN9rocsparseL49gtsv_nopivot_strided_batch_pcr_pow2_shared_kernelILj64EdEEviiiPKT0_S3_S3_PS1_.kd
    .uniform_work_group_size: 1
    .uses_dynamic_stack: false
    .vgpr_count:     50
    .vgpr_spill_count: 0
    .wavefront_size: 64
  - .agpr_count:     0
    .args:
      - .offset:         0
        .size:           4
        .value_kind:     by_value
      - .offset:         4
        .size:           4
        .value_kind:     by_value
      - .offset:         8
        .size:           4
        .value_kind:     by_value
      - .actual_access:  read_only
        .address_space:  global
        .offset:         16
        .size:           8
        .value_kind:     global_buffer
      - .actual_access:  read_only
        .address_space:  global
        .offset:         24
        .size:           8
        .value_kind:     global_buffer
      - .actual_access:  read_only
        .address_space:  global
        .offset:         32
        .size:           8
        .value_kind:     global_buffer
      - .address_space:  global
        .offset:         40
        .size:           8
        .value_kind:     global_buffer
    .group_segment_fixed_size: 7680
    .kernarg_segment_align: 8
    .kernarg_segment_size: 48
    .language:       OpenCL C
    .language_version:
      - 2
      - 0
    .max_flat_workgroup_size: 64
    .name:           _ZN9rocsparseL51gtsv_nopivot_strided_batch_crpcr_pow2_shared_kernelILj64ELj64EdEEviiiPKT1_S3_S3_PS1_
    .private_segment_fixed_size: 0
    .sgpr_count:     18
    .sgpr_spill_count: 0
    .symbol:         _ZN9rocsparseL51gtsv_nopivot_strided_batch_crpcr_pow2_shared_kernelILj64ELj64EdEEviiiPKT1_S3_S3_PS1_.kd
    .uniform_work_group_size: 1
    .uses_dynamic_stack: false
    .vgpr_count:     45
    .vgpr_spill_count: 0
    .wavefront_size: 64
  - .agpr_count:     0
    .args:
      - .offset:         0
        .size:           4
        .value_kind:     by_value
      - .offset:         4
        .size:           4
        .value_kind:     by_value
      - .offset:         8
        .size:           4
        .value_kind:     by_value
      - .actual_access:  read_only
        .address_space:  global
        .offset:         16
        .size:           8
        .value_kind:     global_buffer
      - .actual_access:  read_only
        .address_space:  global
        .offset:         24
        .size:           8
        .value_kind:     global_buffer
      - .actual_access:  read_only
        .address_space:  global
        .offset:         32
        .size:           8
        .value_kind:     global_buffer
      - .address_space:  global
        .offset:         40
        .size:           8
        .value_kind:     global_buffer
    .group_segment_fixed_size: 12800
    .kernarg_segment_align: 8
    .kernarg_segment_size: 48
    .language:       OpenCL C
    .language_version:
      - 2
      - 0
    .max_flat_workgroup_size: 128
    .name:           _ZN9rocsparseL51gtsv_nopivot_strided_batch_crpcr_pow2_shared_kernelILj128ELj64EdEEviiiPKT1_S3_S3_PS1_
    .private_segment_fixed_size: 0
    .sgpr_count:     18
    .sgpr_spill_count: 0
    .symbol:         _ZN9rocsparseL51gtsv_nopivot_strided_batch_crpcr_pow2_shared_kernelILj128ELj64EdEEviiiPKT1_S3_S3_PS1_.kd
    .uniform_work_group_size: 1
    .uses_dynamic_stack: false
    .vgpr_count:     40
    .vgpr_spill_count: 0
    .wavefront_size: 64
  - .agpr_count:     0
    .args:
      - .offset:         0
        .size:           4
        .value_kind:     by_value
      - .offset:         4
        .size:           4
        .value_kind:     by_value
      - .offset:         8
        .size:           4
        .value_kind:     by_value
      - .actual_access:  read_only
        .address_space:  global
        .offset:         16
        .size:           8
        .value_kind:     global_buffer
      - .actual_access:  read_only
        .address_space:  global
        .offset:         24
        .size:           8
        .value_kind:     global_buffer
      - .actual_access:  read_only
        .address_space:  global
        .offset:         32
        .size:           8
        .value_kind:     global_buffer
      - .address_space:  global
        .offset:         40
        .size:           8
        .value_kind:     global_buffer
    .group_segment_fixed_size: 23040
    .kernarg_segment_align: 8
    .kernarg_segment_size: 48
    .language:       OpenCL C
    .language_version:
      - 2
      - 0
    .max_flat_workgroup_size: 256
    .name:           _ZN9rocsparseL51gtsv_nopivot_strided_batch_crpcr_pow2_shared_kernelILj256ELj64EdEEviiiPKT1_S3_S3_PS1_
    .private_segment_fixed_size: 0
    .sgpr_count:     18
    .sgpr_spill_count: 0
    .symbol:         _ZN9rocsparseL51gtsv_nopivot_strided_batch_crpcr_pow2_shared_kernelILj256ELj64EdEEviiiPKT1_S3_S3_PS1_.kd
    .uniform_work_group_size: 1
    .uses_dynamic_stack: false
    .vgpr_count:     40
    .vgpr_spill_count: 0
    .wavefront_size: 64
  - .agpr_count:     0
    .args:
      - .offset:         0
        .size:           4
        .value_kind:     by_value
      - .offset:         4
        .size:           4
        .value_kind:     by_value
      - .offset:         8
        .size:           4
        .value_kind:     by_value
      - .actual_access:  read_only
        .address_space:  global
        .offset:         16
        .size:           8
        .value_kind:     global_buffer
      - .actual_access:  read_only
        .address_space:  global
        .offset:         24
        .size:           8
        .value_kind:     global_buffer
      - .actual_access:  read_only
        .address_space:  global
        .offset:         32
        .size:           8
        .value_kind:     global_buffer
      - .address_space:  global
        .offset:         40
        .size:           8
        .value_kind:     global_buffer
    .group_segment_fixed_size: 160
    .kernarg_segment_align: 8
    .kernarg_segment_size: 48
    .language:       OpenCL C
    .language_version:
      - 2
      - 0
    .max_flat_workgroup_size: 4
    .name:           _ZN9rocsparseL44gtsv_nopivot_strided_batch_pcr_shared_kernelILj4EdEEviiiPKT0_S3_S3_PS1_
    .private_segment_fixed_size: 0
    .sgpr_count:     16
    .sgpr_spill_count: 0
    .symbol:         _ZN9rocsparseL44gtsv_nopivot_strided_batch_pcr_shared_kernelILj4EdEEviiiPKT0_S3_S3_PS1_.kd
    .uniform_work_group_size: 1
    .uses_dynamic_stack: false
    .vgpr_count:     34
    .vgpr_spill_count: 0
    .wavefront_size: 64
  - .agpr_count:     0
    .args:
      - .offset:         0
        .size:           4
        .value_kind:     by_value
      - .offset:         4
        .size:           4
        .value_kind:     by_value
      - .offset:         8
        .size:           4
        .value_kind:     by_value
      - .actual_access:  read_only
        .address_space:  global
        .offset:         16
        .size:           8
        .value_kind:     global_buffer
      - .actual_access:  read_only
        .address_space:  global
        .offset:         24
        .size:           8
        .value_kind:     global_buffer
      - .actual_access:  read_only
        .address_space:  global
        .offset:         32
        .size:           8
        .value_kind:     global_buffer
      - .address_space:  global
        .offset:         40
        .size:           8
        .value_kind:     global_buffer
    .group_segment_fixed_size: 320
    .kernarg_segment_align: 8
    .kernarg_segment_size: 48
    .language:       OpenCL C
    .language_version:
      - 2
      - 0
    .max_flat_workgroup_size: 8
    .name:           _ZN9rocsparseL44gtsv_nopivot_strided_batch_pcr_shared_kernelILj8EdEEviiiPKT0_S3_S3_PS1_
    .private_segment_fixed_size: 0
    .sgpr_count:     16
    .sgpr_spill_count: 0
    .symbol:         _ZN9rocsparseL44gtsv_nopivot_strided_batch_pcr_shared_kernelILj8EdEEviiiPKT0_S3_S3_PS1_.kd
    .uniform_work_group_size: 1
    .uses_dynamic_stack: false
    .vgpr_count:     34
    .vgpr_spill_count: 0
    .wavefront_size: 64
  - .agpr_count:     0
    .args:
      - .offset:         0
        .size:           4
        .value_kind:     by_value
      - .offset:         4
        .size:           4
        .value_kind:     by_value
      - .offset:         8
        .size:           4
        .value_kind:     by_value
      - .actual_access:  read_only
        .address_space:  global
        .offset:         16
        .size:           8
        .value_kind:     global_buffer
      - .actual_access:  read_only
        .address_space:  global
        .offset:         24
        .size:           8
        .value_kind:     global_buffer
      - .actual_access:  read_only
        .address_space:  global
        .offset:         32
        .size:           8
        .value_kind:     global_buffer
      - .address_space:  global
        .offset:         40
        .size:           8
        .value_kind:     global_buffer
    .group_segment_fixed_size: 640
    .kernarg_segment_align: 8
    .kernarg_segment_size: 48
    .language:       OpenCL C
    .language_version:
      - 2
      - 0
    .max_flat_workgroup_size: 16
    .name:           _ZN9rocsparseL44gtsv_nopivot_strided_batch_pcr_shared_kernelILj16EdEEviiiPKT0_S3_S3_PS1_
    .private_segment_fixed_size: 0
    .sgpr_count:     16
    .sgpr_spill_count: 0
    .symbol:         _ZN9rocsparseL44gtsv_nopivot_strided_batch_pcr_shared_kernelILj16EdEEviiiPKT0_S3_S3_PS1_.kd
    .uniform_work_group_size: 1
    .uses_dynamic_stack: false
    .vgpr_count:     34
    .vgpr_spill_count: 0
    .wavefront_size: 64
  - .agpr_count:     0
    .args:
      - .offset:         0
        .size:           4
        .value_kind:     by_value
      - .offset:         4
        .size:           4
        .value_kind:     by_value
      - .offset:         8
        .size:           4
        .value_kind:     by_value
      - .actual_access:  read_only
        .address_space:  global
        .offset:         16
        .size:           8
        .value_kind:     global_buffer
      - .actual_access:  read_only
        .address_space:  global
        .offset:         24
        .size:           8
        .value_kind:     global_buffer
      - .actual_access:  read_only
        .address_space:  global
        .offset:         32
        .size:           8
        .value_kind:     global_buffer
      - .address_space:  global
        .offset:         40
        .size:           8
        .value_kind:     global_buffer
    .group_segment_fixed_size: 1280
    .kernarg_segment_align: 8
    .kernarg_segment_size: 48
    .language:       OpenCL C
    .language_version:
      - 2
      - 0
    .max_flat_workgroup_size: 32
    .name:           _ZN9rocsparseL44gtsv_nopivot_strided_batch_pcr_shared_kernelILj32EdEEviiiPKT0_S3_S3_PS1_
    .private_segment_fixed_size: 0
    .sgpr_count:     16
    .sgpr_spill_count: 0
    .symbol:         _ZN9rocsparseL44gtsv_nopivot_strided_batch_pcr_shared_kernelILj32EdEEviiiPKT0_S3_S3_PS1_.kd
    .uniform_work_group_size: 1
    .uses_dynamic_stack: false
    .vgpr_count:     34
    .vgpr_spill_count: 0
    .wavefront_size: 64
  - .agpr_count:     0
    .args:
      - .offset:         0
        .size:           4
        .value_kind:     by_value
      - .offset:         4
        .size:           4
        .value_kind:     by_value
      - .offset:         8
        .size:           4
        .value_kind:     by_value
      - .actual_access:  read_only
        .address_space:  global
        .offset:         16
        .size:           8
        .value_kind:     global_buffer
      - .actual_access:  read_only
        .address_space:  global
        .offset:         24
        .size:           8
        .value_kind:     global_buffer
      - .actual_access:  read_only
        .address_space:  global
        .offset:         32
        .size:           8
        .value_kind:     global_buffer
      - .address_space:  global
        .offset:         40
        .size:           8
        .value_kind:     global_buffer
    .group_segment_fixed_size: 2560
    .kernarg_segment_align: 8
    .kernarg_segment_size: 48
    .language:       OpenCL C
    .language_version:
      - 2
      - 0
    .max_flat_workgroup_size: 64
    .name:           _ZN9rocsparseL44gtsv_nopivot_strided_batch_pcr_shared_kernelILj64EdEEviiiPKT0_S3_S3_PS1_
    .private_segment_fixed_size: 0
    .sgpr_count:     16
    .sgpr_spill_count: 0
    .symbol:         _ZN9rocsparseL44gtsv_nopivot_strided_batch_pcr_shared_kernelILj64EdEEviiiPKT0_S3_S3_PS1_.kd
    .uniform_work_group_size: 1
    .uses_dynamic_stack: false
    .vgpr_count:     34
    .vgpr_spill_count: 0
    .wavefront_size: 64
  - .agpr_count:     0
    .args:
      - .offset:         0
        .size:           4
        .value_kind:     by_value
      - .offset:         4
        .size:           4
        .value_kind:     by_value
      - .offset:         8
        .size:           4
        .value_kind:     by_value
      - .actual_access:  read_only
        .address_space:  global
        .offset:         16
        .size:           8
        .value_kind:     global_buffer
      - .actual_access:  read_only
        .address_space:  global
        .offset:         24
        .size:           8
        .value_kind:     global_buffer
      - .actual_access:  read_only
        .address_space:  global
        .offset:         32
        .size:           8
        .value_kind:     global_buffer
      - .address_space:  global
        .offset:         40
        .size:           8
        .value_kind:     global_buffer
    .group_segment_fixed_size: 5120
    .kernarg_segment_align: 8
    .kernarg_segment_size: 48
    .language:       OpenCL C
    .language_version:
      - 2
      - 0
    .max_flat_workgroup_size: 128
    .name:           _ZN9rocsparseL44gtsv_nopivot_strided_batch_pcr_shared_kernelILj128EdEEviiiPKT0_S3_S3_PS1_
    .private_segment_fixed_size: 0
    .sgpr_count:     16
    .sgpr_spill_count: 0
    .symbol:         _ZN9rocsparseL44gtsv_nopivot_strided_batch_pcr_shared_kernelILj128EdEEviiiPKT0_S3_S3_PS1_.kd
    .uniform_work_group_size: 1
    .uses_dynamic_stack: false
    .vgpr_count:     34
    .vgpr_spill_count: 0
    .wavefront_size: 64
  - .agpr_count:     0
    .args:
      - .offset:         0
        .size:           4
        .value_kind:     by_value
      - .offset:         4
        .size:           4
        .value_kind:     by_value
      - .offset:         8
        .size:           4
        .value_kind:     by_value
      - .actual_access:  read_only
        .address_space:  global
        .offset:         16
        .size:           8
        .value_kind:     global_buffer
      - .actual_access:  read_only
        .address_space:  global
        .offset:         24
        .size:           8
        .value_kind:     global_buffer
      - .actual_access:  read_only
        .address_space:  global
        .offset:         32
        .size:           8
        .value_kind:     global_buffer
      - .address_space:  global
        .offset:         40
        .size:           8
        .value_kind:     global_buffer
    .group_segment_fixed_size: 10240
    .kernarg_segment_align: 8
    .kernarg_segment_size: 48
    .language:       OpenCL C
    .language_version:
      - 2
      - 0
    .max_flat_workgroup_size: 256
    .name:           _ZN9rocsparseL44gtsv_nopivot_strided_batch_pcr_shared_kernelILj256EdEEviiiPKT0_S3_S3_PS1_
    .private_segment_fixed_size: 0
    .sgpr_count:     16
    .sgpr_spill_count: 0
    .symbol:         _ZN9rocsparseL44gtsv_nopivot_strided_batch_pcr_shared_kernelILj256EdEEviiiPKT0_S3_S3_PS1_.kd
    .uniform_work_group_size: 1
    .uses_dynamic_stack: false
    .vgpr_count:     34
    .vgpr_spill_count: 0
    .wavefront_size: 64
  - .agpr_count:     0
    .args:
      - .offset:         0
        .size:           4
        .value_kind:     by_value
      - .offset:         4
        .size:           4
        .value_kind:     by_value
      - .offset:         8
        .size:           4
        .value_kind:     by_value
      - .actual_access:  read_only
        .address_space:  global
        .offset:         16
        .size:           8
        .value_kind:     global_buffer
      - .actual_access:  read_only
        .address_space:  global
        .offset:         24
        .size:           8
        .value_kind:     global_buffer
      - .actual_access:  read_only
        .address_space:  global
        .offset:         32
        .size:           8
        .value_kind:     global_buffer
      - .address_space:  global
        .offset:         40
        .size:           8
        .value_kind:     global_buffer
    .group_segment_fixed_size: 20480
    .kernarg_segment_align: 8
    .kernarg_segment_size: 48
    .language:       OpenCL C
    .language_version:
      - 2
      - 0
    .max_flat_workgroup_size: 512
    .name:           _ZN9rocsparseL44gtsv_nopivot_strided_batch_pcr_shared_kernelILj512EdEEviiiPKT0_S3_S3_PS1_
    .private_segment_fixed_size: 0
    .sgpr_count:     16
    .sgpr_spill_count: 0
    .symbol:         _ZN9rocsparseL44gtsv_nopivot_strided_batch_pcr_shared_kernelILj512EdEEviiiPKT0_S3_S3_PS1_.kd
    .uniform_work_group_size: 1
    .uses_dynamic_stack: false
    .vgpr_count:     34
    .vgpr_spill_count: 0
    .wavefront_size: 64
  - .agpr_count:     0
    .args:
      - .offset:         0
        .size:           4
        .value_kind:     by_value
      - .offset:         4
        .size:           4
        .value_kind:     by_value
      - .offset:         8
        .size:           4
        .value_kind:     by_value
      - .offset:         12
        .size:           4
        .value_kind:     by_value
      - .actual_access:  read_only
        .address_space:  global
        .offset:         16
        .size:           8
        .value_kind:     global_buffer
      - .actual_access:  read_only
        .address_space:  global
        .offset:         24
        .size:           8
        .value_kind:     global_buffer
      - .actual_access:  read_only
        .address_space:  global
        .offset:         32
        .size:           8
        .value_kind:     global_buffer
      - .actual_access:  read_only
        .address_space:  global
        .offset:         40
        .size:           8
        .value_kind:     global_buffer
      - .actual_access:  write_only
        .address_space:  global
        .offset:         48
        .size:           8
        .value_kind:     global_buffer
      - .actual_access:  write_only
        .address_space:  global
        .offset:         56
        .size:           8
        .value_kind:     global_buffer
      - .actual_access:  write_only
        .address_space:  global
        .offset:         64
        .size:           8
        .value_kind:     global_buffer
      - .actual_access:  write_only
        .address_space:  global
        .offset:         72
        .size:           8
        .value_kind:     global_buffer
    .group_segment_fixed_size: 0
    .kernarg_segment_align: 8
    .kernarg_segment_size: 80
    .language:       OpenCL C
    .language_version:
      - 2
      - 0
    .max_flat_workgroup_size: 256
    .name:           _ZN9rocsparseL49gtsv_nopivot_strided_batch_pcr_pow2_stage1_kernelILj256EdEEviiiiPKT0_S3_S3_S3_PS1_S4_S4_S4_
    .private_segment_fixed_size: 0
    .sgpr_count:     32
    .sgpr_spill_count: 0
    .symbol:         _ZN9rocsparseL49gtsv_nopivot_strided_batch_pcr_pow2_stage1_kernelILj256EdEEviiiiPKT0_S3_S3_S3_PS1_S4_S4_S4_.kd
    .uniform_work_group_size: 1
    .uses_dynamic_stack: false
    .vgpr_count:     48
    .vgpr_spill_count: 0
    .wavefront_size: 64
  - .agpr_count:     0
    .args:
      - .offset:         0
        .size:           4
        .value_kind:     by_value
      - .offset:         4
        .size:           4
        .value_kind:     by_value
      - .offset:         8
        .size:           4
        .value_kind:     by_value
      - .actual_access:  read_only
        .address_space:  global
        .offset:         16
        .size:           8
        .value_kind:     global_buffer
      - .actual_access:  read_only
        .address_space:  global
        .offset:         24
        .size:           8
        .value_kind:     global_buffer
      - .actual_access:  read_only
        .address_space:  global
        .offset:         32
        .size:           8
        .value_kind:     global_buffer
      - .actual_access:  read_only
        .address_space:  global
        .offset:         40
        .size:           8
        .value_kind:     global_buffer
      - .actual_access:  write_only
        .address_space:  global
        .offset:         48
        .size:           8
        .value_kind:     global_buffer
      - .offset:         56
        .size:           4
        .value_kind:     hidden_block_count_x
      - .offset:         60
        .size:           4
        .value_kind:     hidden_block_count_y
      - .offset:         64
        .size:           4
        .value_kind:     hidden_block_count_z
      - .offset:         68
        .size:           2
        .value_kind:     hidden_group_size_x
      - .offset:         70
        .size:           2
        .value_kind:     hidden_group_size_y
      - .offset:         72
        .size:           2
        .value_kind:     hidden_group_size_z
      - .offset:         74
        .size:           2
        .value_kind:     hidden_remainder_x
      - .offset:         76
        .size:           2
        .value_kind:     hidden_remainder_y
      - .offset:         78
        .size:           2
        .value_kind:     hidden_remainder_z
      - .offset:         96
        .size:           8
        .value_kind:     hidden_global_offset_x
      - .offset:         104
        .size:           8
        .value_kind:     hidden_global_offset_y
      - .offset:         112
        .size:           8
        .value_kind:     hidden_global_offset_z
      - .offset:         120
        .size:           2
        .value_kind:     hidden_grid_dims
    .group_segment_fixed_size: 20480
    .kernarg_segment_align: 8
    .kernarg_segment_size: 312
    .language:       OpenCL C
    .language_version:
      - 2
      - 0
    .max_flat_workgroup_size: 256
    .name:           _ZN9rocsparseL48gtsv_nopivot_strided_batch_cr_pow2_stage2_kernelILj256EdEEviiiPKT0_S3_S3_S3_PS1_
    .private_segment_fixed_size: 0
    .sgpr_count:     32
    .sgpr_spill_count: 0
    .symbol:         _ZN9rocsparseL48gtsv_nopivot_strided_batch_cr_pow2_stage2_kernelILj256EdEEviiiPKT0_S3_S3_S3_PS1_.kd
    .uniform_work_group_size: 1
    .uses_dynamic_stack: false
    .vgpr_count:     38
    .vgpr_spill_count: 0
    .wavefront_size: 64
  - .agpr_count:     0
    .args:
      - .offset:         0
        .size:           4
        .value_kind:     by_value
      - .offset:         4
        .size:           4
        .value_kind:     by_value
      - .offset:         8
        .size:           4
        .value_kind:     by_value
      - .offset:         12
        .size:           4
        .value_kind:     by_value
      - .actual_access:  read_only
        .address_space:  global
        .offset:         16
        .size:           8
        .value_kind:     global_buffer
      - .actual_access:  read_only
        .address_space:  global
        .offset:         24
        .size:           8
        .value_kind:     global_buffer
      - .actual_access:  read_only
        .address_space:  global
        .offset:         32
        .size:           8
        .value_kind:     global_buffer
      - .actual_access:  read_only
        .address_space:  global
        .offset:         40
        .size:           8
        .value_kind:     global_buffer
      - .actual_access:  write_only
        .address_space:  global
        .offset:         48
        .size:           8
        .value_kind:     global_buffer
      - .actual_access:  write_only
        .address_space:  global
        .offset:         56
        .size:           8
        .value_kind:     global_buffer
      - .actual_access:  write_only
        .address_space:  global
        .offset:         64
        .size:           8
        .value_kind:     global_buffer
      - .actual_access:  write_only
        .address_space:  global
        .offset:         72
        .size:           8
        .value_kind:     global_buffer
    .group_segment_fixed_size: 0
    .kernarg_segment_align: 8
    .kernarg_segment_size: 80
    .language:       OpenCL C
    .language_version:
      - 2
      - 0
    .max_flat_workgroup_size: 256
    .name:           _ZN9rocsparseL44gtsv_nopivot_strided_batch_pcr_stage1_kernelILj256EdEEviiiiPKT0_S3_S3_S3_PS1_S4_S4_S4_
    .private_segment_fixed_size: 0
    .sgpr_count:     30
    .sgpr_spill_count: 0
    .symbol:         _ZN9rocsparseL44gtsv_nopivot_strided_batch_pcr_stage1_kernelILj256EdEEviiiiPKT0_S3_S3_S3_PS1_S4_S4_S4_.kd
    .uniform_work_group_size: 1
    .uses_dynamic_stack: false
    .vgpr_count:     40
    .vgpr_spill_count: 0
    .wavefront_size: 64
  - .agpr_count:     0
    .args:
      - .offset:         0
        .size:           4
        .value_kind:     by_value
      - .offset:         4
        .size:           4
        .value_kind:     by_value
      - .offset:         8
        .size:           4
        .value_kind:     by_value
      - .actual_access:  read_only
        .address_space:  global
        .offset:         16
        .size:           8
        .value_kind:     global_buffer
      - .actual_access:  read_only
        .address_space:  global
        .offset:         24
        .size:           8
        .value_kind:     global_buffer
      - .actual_access:  read_only
        .address_space:  global
        .offset:         32
        .size:           8
        .value_kind:     global_buffer
      - .actual_access:  read_only
        .address_space:  global
        .offset:         40
        .size:           8
        .value_kind:     global_buffer
      - .actual_access:  write_only
        .address_space:  global
        .offset:         48
        .size:           8
        .value_kind:     global_buffer
      - .offset:         56
        .size:           4
        .value_kind:     hidden_block_count_x
      - .offset:         60
        .size:           4
        .value_kind:     hidden_block_count_y
      - .offset:         64
        .size:           4
        .value_kind:     hidden_block_count_z
      - .offset:         68
        .size:           2
        .value_kind:     hidden_group_size_x
      - .offset:         70
        .size:           2
        .value_kind:     hidden_group_size_y
      - .offset:         72
        .size:           2
        .value_kind:     hidden_group_size_z
      - .offset:         74
        .size:           2
        .value_kind:     hidden_remainder_x
      - .offset:         76
        .size:           2
        .value_kind:     hidden_remainder_y
      - .offset:         78
        .size:           2
        .value_kind:     hidden_remainder_z
      - .offset:         96
        .size:           8
        .value_kind:     hidden_global_offset_x
      - .offset:         104
        .size:           8
        .value_kind:     hidden_global_offset_y
      - .offset:         112
        .size:           8
        .value_kind:     hidden_global_offset_z
      - .offset:         120
        .size:           2
        .value_kind:     hidden_grid_dims
    .group_segment_fixed_size: 20480
    .kernarg_segment_align: 8
    .kernarg_segment_size: 312
    .language:       OpenCL C
    .language_version:
      - 2
      - 0
    .max_flat_workgroup_size: 512
    .name:           _ZN9rocsparseL44gtsv_nopivot_strided_batch_pcr_stage2_kernelILj512EdEEviiiPKT0_S3_S3_S3_PS1_
    .private_segment_fixed_size: 0
    .sgpr_count:     22
    .sgpr_spill_count: 0
    .symbol:         _ZN9rocsparseL44gtsv_nopivot_strided_batch_pcr_stage2_kernelILj512EdEEviiiPKT0_S3_S3_S3_PS1_.kd
    .uniform_work_group_size: 1
    .uses_dynamic_stack: false
    .vgpr_count:     46
    .vgpr_spill_count: 0
    .wavefront_size: 64
  - .agpr_count:     0
    .args:
      - .offset:         0
        .size:           4
        .value_kind:     by_value
      - .offset:         4
        .size:           4
        .value_kind:     by_value
      - .offset:         8
        .size:           4
        .value_kind:     by_value
      - .actual_access:  read_only
        .address_space:  global
        .offset:         16
        .size:           8
        .value_kind:     global_buffer
      - .actual_access:  read_only
        .address_space:  global
        .offset:         24
        .size:           8
        .value_kind:     global_buffer
      - .actual_access:  read_only
        .address_space:  global
        .offset:         32
        .size:           8
        .value_kind:     global_buffer
      - .address_space:  global
        .offset:         40
        .size:           8
        .value_kind:     global_buffer
    .group_segment_fixed_size: 152
    .kernarg_segment_align: 8
    .kernarg_segment_size: 48
    .language:       OpenCL C
    .language_version:
      - 2
      - 0
    .max_flat_workgroup_size: 2
    .name:           _ZN9rocsparseL49gtsv_nopivot_strided_batch_pcr_pow2_shared_kernelILj2E21rocsparse_complex_numIfEEEviiiPKT0_S5_S5_PS3_
    .private_segment_fixed_size: 0
    .sgpr_count:     18
    .sgpr_spill_count: 0
    .symbol:         _ZN9rocsparseL49gtsv_nopivot_strided_batch_pcr_pow2_shared_kernelILj2E21rocsparse_complex_numIfEEEviiiPKT0_S5_S5_PS3_.kd
    .uniform_work_group_size: 1
    .uses_dynamic_stack: false
    .vgpr_count:     30
    .vgpr_spill_count: 0
    .wavefront_size: 64
  - .agpr_count:     0
    .args:
      - .offset:         0
        .size:           4
        .value_kind:     by_value
      - .offset:         4
        .size:           4
        .value_kind:     by_value
      - .offset:         8
        .size:           4
        .value_kind:     by_value
      - .actual_access:  read_only
        .address_space:  global
        .offset:         16
        .size:           8
        .value_kind:     global_buffer
      - .actual_access:  read_only
        .address_space:  global
        .offset:         24
        .size:           8
        .value_kind:     global_buffer
      - .actual_access:  read_only
        .address_space:  global
        .offset:         32
        .size:           8
        .value_kind:     global_buffer
      - .address_space:  global
        .offset:         40
        .size:           8
        .value_kind:     global_buffer
    .group_segment_fixed_size: 232
    .kernarg_segment_align: 8
    .kernarg_segment_size: 48
    .language:       OpenCL C
    .language_version:
      - 2
      - 0
    .max_flat_workgroup_size: 4
    .name:           _ZN9rocsparseL49gtsv_nopivot_strided_batch_pcr_pow2_shared_kernelILj4E21rocsparse_complex_numIfEEEviiiPKT0_S5_S5_PS3_
    .private_segment_fixed_size: 0
    .sgpr_count:     18
    .sgpr_spill_count: 0
    .symbol:         _ZN9rocsparseL49gtsv_nopivot_strided_batch_pcr_pow2_shared_kernelILj4E21rocsparse_complex_numIfEEEviiiPKT0_S5_S5_PS3_.kd
    .uniform_work_group_size: 1
    .uses_dynamic_stack: false
    .vgpr_count:     48
    .vgpr_spill_count: 0
    .wavefront_size: 64
  - .agpr_count:     0
    .args:
      - .offset:         0
        .size:           4
        .value_kind:     by_value
      - .offset:         4
        .size:           4
        .value_kind:     by_value
      - .offset:         8
        .size:           4
        .value_kind:     by_value
      - .actual_access:  read_only
        .address_space:  global
        .offset:         16
        .size:           8
        .value_kind:     global_buffer
      - .actual_access:  read_only
        .address_space:  global
        .offset:         24
        .size:           8
        .value_kind:     global_buffer
      - .actual_access:  read_only
        .address_space:  global
        .offset:         32
        .size:           8
        .value_kind:     global_buffer
      - .address_space:  global
        .offset:         40
        .size:           8
        .value_kind:     global_buffer
    .group_segment_fixed_size: 392
    .kernarg_segment_align: 8
    .kernarg_segment_size: 48
    .language:       OpenCL C
    .language_version:
      - 2
      - 0
    .max_flat_workgroup_size: 8
    .name:           _ZN9rocsparseL49gtsv_nopivot_strided_batch_pcr_pow2_shared_kernelILj8E21rocsparse_complex_numIfEEEviiiPKT0_S5_S5_PS3_
    .private_segment_fixed_size: 0
    .sgpr_count:     18
    .sgpr_spill_count: 0
    .symbol:         _ZN9rocsparseL49gtsv_nopivot_strided_batch_pcr_pow2_shared_kernelILj8E21rocsparse_complex_numIfEEEviiiPKT0_S5_S5_PS3_.kd
    .uniform_work_group_size: 1
    .uses_dynamic_stack: false
    .vgpr_count:     49
    .vgpr_spill_count: 0
    .wavefront_size: 64
  - .agpr_count:     0
    .args:
      - .offset:         0
        .size:           4
        .value_kind:     by_value
      - .offset:         4
        .size:           4
        .value_kind:     by_value
      - .offset:         8
        .size:           4
        .value_kind:     by_value
      - .actual_access:  read_only
        .address_space:  global
        .offset:         16
        .size:           8
        .value_kind:     global_buffer
      - .actual_access:  read_only
        .address_space:  global
        .offset:         24
        .size:           8
        .value_kind:     global_buffer
      - .actual_access:  read_only
        .address_space:  global
        .offset:         32
        .size:           8
        .value_kind:     global_buffer
      - .address_space:  global
        .offset:         40
        .size:           8
        .value_kind:     global_buffer
    .group_segment_fixed_size: 712
    .kernarg_segment_align: 8
    .kernarg_segment_size: 48
    .language:       OpenCL C
    .language_version:
      - 2
      - 0
    .max_flat_workgroup_size: 16
    .name:           _ZN9rocsparseL49gtsv_nopivot_strided_batch_pcr_pow2_shared_kernelILj16E21rocsparse_complex_numIfEEEviiiPKT0_S5_S5_PS3_
    .private_segment_fixed_size: 0
    .sgpr_count:     18
    .sgpr_spill_count: 0
    .symbol:         _ZN9rocsparseL49gtsv_nopivot_strided_batch_pcr_pow2_shared_kernelILj16E21rocsparse_complex_numIfEEEviiiPKT0_S5_S5_PS3_.kd
    .uniform_work_group_size: 1
    .uses_dynamic_stack: false
    .vgpr_count:     49
    .vgpr_spill_count: 0
    .wavefront_size: 64
  - .agpr_count:     0
    .args:
      - .offset:         0
        .size:           4
        .value_kind:     by_value
      - .offset:         4
        .size:           4
        .value_kind:     by_value
      - .offset:         8
        .size:           4
        .value_kind:     by_value
      - .actual_access:  read_only
        .address_space:  global
        .offset:         16
        .size:           8
        .value_kind:     global_buffer
      - .actual_access:  read_only
        .address_space:  global
        .offset:         24
        .size:           8
        .value_kind:     global_buffer
      - .actual_access:  read_only
        .address_space:  global
        .offset:         32
        .size:           8
        .value_kind:     global_buffer
      - .address_space:  global
        .offset:         40
        .size:           8
        .value_kind:     global_buffer
    .group_segment_fixed_size: 1352
    .kernarg_segment_align: 8
    .kernarg_segment_size: 48
    .language:       OpenCL C
    .language_version:
      - 2
      - 0
    .max_flat_workgroup_size: 32
    .name:           _ZN9rocsparseL49gtsv_nopivot_strided_batch_pcr_pow2_shared_kernelILj32E21rocsparse_complex_numIfEEEviiiPKT0_S5_S5_PS3_
    .private_segment_fixed_size: 0
    .sgpr_count:     18
    .sgpr_spill_count: 0
    .symbol:         _ZN9rocsparseL49gtsv_nopivot_strided_batch_pcr_pow2_shared_kernelILj32E21rocsparse_complex_numIfEEEviiiPKT0_S5_S5_PS3_.kd
    .uniform_work_group_size: 1
    .uses_dynamic_stack: false
    .vgpr_count:     49
    .vgpr_spill_count: 0
    .wavefront_size: 64
  - .agpr_count:     0
    .args:
      - .offset:         0
        .size:           4
        .value_kind:     by_value
      - .offset:         4
        .size:           4
        .value_kind:     by_value
      - .offset:         8
        .size:           4
        .value_kind:     by_value
      - .actual_access:  read_only
        .address_space:  global
        .offset:         16
        .size:           8
        .value_kind:     global_buffer
      - .actual_access:  read_only
        .address_space:  global
        .offset:         24
        .size:           8
        .value_kind:     global_buffer
      - .actual_access:  read_only
        .address_space:  global
        .offset:         32
        .size:           8
        .value_kind:     global_buffer
      - .address_space:  global
        .offset:         40
        .size:           8
        .value_kind:     global_buffer
    .group_segment_fixed_size: 2632
    .kernarg_segment_align: 8
    .kernarg_segment_size: 48
    .language:       OpenCL C
    .language_version:
      - 2
      - 0
    .max_flat_workgroup_size: 64
    .name:           _ZN9rocsparseL49gtsv_nopivot_strided_batch_pcr_pow2_shared_kernelILj64E21rocsparse_complex_numIfEEEviiiPKT0_S5_S5_PS3_
    .private_segment_fixed_size: 0
    .sgpr_count:     18
    .sgpr_spill_count: 0
    .symbol:         _ZN9rocsparseL49gtsv_nopivot_strided_batch_pcr_pow2_shared_kernelILj64E21rocsparse_complex_numIfEEEviiiPKT0_S5_S5_PS3_.kd
    .uniform_work_group_size: 1
    .uses_dynamic_stack: false
    .vgpr_count:     50
    .vgpr_spill_count: 0
    .wavefront_size: 64
  - .agpr_count:     0
    .args:
      - .offset:         0
        .size:           4
        .value_kind:     by_value
      - .offset:         4
        .size:           4
        .value_kind:     by_value
      - .offset:         8
        .size:           4
        .value_kind:     by_value
      - .actual_access:  read_only
        .address_space:  global
        .offset:         16
        .size:           8
        .value_kind:     global_buffer
      - .actual_access:  read_only
        .address_space:  global
        .offset:         24
        .size:           8
        .value_kind:     global_buffer
      - .actual_access:  read_only
        .address_space:  global
        .offset:         32
        .size:           8
        .value_kind:     global_buffer
      - .address_space:  global
        .offset:         40
        .size:           8
        .value_kind:     global_buffer
    .group_segment_fixed_size: 7680
    .kernarg_segment_align: 8
    .kernarg_segment_size: 48
    .language:       OpenCL C
    .language_version:
      - 2
      - 0
    .max_flat_workgroup_size: 64
    .name:           _ZN9rocsparseL51gtsv_nopivot_strided_batch_crpcr_pow2_shared_kernelILj64ELj64E21rocsparse_complex_numIfEEEviiiPKT1_S5_S5_PS3_
    .private_segment_fixed_size: 0
    .sgpr_count:     18
    .sgpr_spill_count: 0
    .symbol:         _ZN9rocsparseL51gtsv_nopivot_strided_batch_crpcr_pow2_shared_kernelILj64ELj64E21rocsparse_complex_numIfEEEviiiPKT1_S5_S5_PS3_.kd
    .uniform_work_group_size: 1
    .uses_dynamic_stack: false
    .vgpr_count:     36
    .vgpr_spill_count: 0
    .wavefront_size: 64
  - .agpr_count:     0
    .args:
      - .offset:         0
        .size:           4
        .value_kind:     by_value
      - .offset:         4
        .size:           4
        .value_kind:     by_value
      - .offset:         8
        .size:           4
        .value_kind:     by_value
      - .actual_access:  read_only
        .address_space:  global
        .offset:         16
        .size:           8
        .value_kind:     global_buffer
      - .actual_access:  read_only
        .address_space:  global
        .offset:         24
        .size:           8
        .value_kind:     global_buffer
      - .actual_access:  read_only
        .address_space:  global
        .offset:         32
        .size:           8
        .value_kind:     global_buffer
      - .address_space:  global
        .offset:         40
        .size:           8
        .value_kind:     global_buffer
    .group_segment_fixed_size: 12800
    .kernarg_segment_align: 8
    .kernarg_segment_size: 48
    .language:       OpenCL C
    .language_version:
      - 2
      - 0
    .max_flat_workgroup_size: 128
    .name:           _ZN9rocsparseL51gtsv_nopivot_strided_batch_crpcr_pow2_shared_kernelILj128ELj64E21rocsparse_complex_numIfEEEviiiPKT1_S5_S5_PS3_
    .private_segment_fixed_size: 0
    .sgpr_count:     18
    .sgpr_spill_count: 0
    .symbol:         _ZN9rocsparseL51gtsv_nopivot_strided_batch_crpcr_pow2_shared_kernelILj128ELj64E21rocsparse_complex_numIfEEEviiiPKT1_S5_S5_PS3_.kd
    .uniform_work_group_size: 1
    .uses_dynamic_stack: false
    .vgpr_count:     36
    .vgpr_spill_count: 0
    .wavefront_size: 64
  - .agpr_count:     0
    .args:
      - .offset:         0
        .size:           4
        .value_kind:     by_value
      - .offset:         4
        .size:           4
        .value_kind:     by_value
      - .offset:         8
        .size:           4
        .value_kind:     by_value
      - .actual_access:  read_only
        .address_space:  global
        .offset:         16
        .size:           8
        .value_kind:     global_buffer
      - .actual_access:  read_only
        .address_space:  global
        .offset:         24
        .size:           8
        .value_kind:     global_buffer
      - .actual_access:  read_only
        .address_space:  global
        .offset:         32
        .size:           8
        .value_kind:     global_buffer
      - .address_space:  global
        .offset:         40
        .size:           8
        .value_kind:     global_buffer
    .group_segment_fixed_size: 23040
    .kernarg_segment_align: 8
    .kernarg_segment_size: 48
    .language:       OpenCL C
    .language_version:
      - 2
      - 0
    .max_flat_workgroup_size: 256
    .name:           _ZN9rocsparseL51gtsv_nopivot_strided_batch_crpcr_pow2_shared_kernelILj256ELj64E21rocsparse_complex_numIfEEEviiiPKT1_S5_S5_PS3_
    .private_segment_fixed_size: 0
    .sgpr_count:     18
    .sgpr_spill_count: 0
    .symbol:         _ZN9rocsparseL51gtsv_nopivot_strided_batch_crpcr_pow2_shared_kernelILj256ELj64E21rocsparse_complex_numIfEEEviiiPKT1_S5_S5_PS3_.kd
    .uniform_work_group_size: 1
    .uses_dynamic_stack: false
    .vgpr_count:     36
    .vgpr_spill_count: 0
    .wavefront_size: 64
  - .agpr_count:     0
    .args:
      - .offset:         0
        .size:           4
        .value_kind:     by_value
      - .offset:         4
        .size:           4
        .value_kind:     by_value
      - .offset:         8
        .size:           4
        .value_kind:     by_value
      - .actual_access:  read_only
        .address_space:  global
        .offset:         16
        .size:           8
        .value_kind:     global_buffer
      - .actual_access:  read_only
        .address_space:  global
        .offset:         24
        .size:           8
        .value_kind:     global_buffer
      - .actual_access:  read_only
        .address_space:  global
        .offset:         32
        .size:           8
        .value_kind:     global_buffer
      - .address_space:  global
        .offset:         40
        .size:           8
        .value_kind:     global_buffer
    .group_segment_fixed_size: 160
    .kernarg_segment_align: 8
    .kernarg_segment_size: 48
    .language:       OpenCL C
    .language_version:
      - 2
      - 0
    .max_flat_workgroup_size: 4
    .name:           _ZN9rocsparseL44gtsv_nopivot_strided_batch_pcr_shared_kernelILj4E21rocsparse_complex_numIfEEEviiiPKT0_S5_S5_PS3_
    .private_segment_fixed_size: 0
    .sgpr_count:     16
    .sgpr_spill_count: 0
    .symbol:         _ZN9rocsparseL44gtsv_nopivot_strided_batch_pcr_shared_kernelILj4E21rocsparse_complex_numIfEEEviiiPKT0_S5_S5_PS3_.kd
    .uniform_work_group_size: 1
    .uses_dynamic_stack: false
    .vgpr_count:     32
    .vgpr_spill_count: 0
    .wavefront_size: 64
  - .agpr_count:     0
    .args:
      - .offset:         0
        .size:           4
        .value_kind:     by_value
      - .offset:         4
        .size:           4
        .value_kind:     by_value
      - .offset:         8
        .size:           4
        .value_kind:     by_value
      - .actual_access:  read_only
        .address_space:  global
        .offset:         16
        .size:           8
        .value_kind:     global_buffer
      - .actual_access:  read_only
        .address_space:  global
        .offset:         24
        .size:           8
        .value_kind:     global_buffer
      - .actual_access:  read_only
        .address_space:  global
        .offset:         32
        .size:           8
        .value_kind:     global_buffer
      - .address_space:  global
        .offset:         40
        .size:           8
        .value_kind:     global_buffer
    .group_segment_fixed_size: 320
    .kernarg_segment_align: 8
    .kernarg_segment_size: 48
    .language:       OpenCL C
    .language_version:
      - 2
      - 0
    .max_flat_workgroup_size: 8
    .name:           _ZN9rocsparseL44gtsv_nopivot_strided_batch_pcr_shared_kernelILj8E21rocsparse_complex_numIfEEEviiiPKT0_S5_S5_PS3_
    .private_segment_fixed_size: 0
    .sgpr_count:     16
    .sgpr_spill_count: 0
    .symbol:         _ZN9rocsparseL44gtsv_nopivot_strided_batch_pcr_shared_kernelILj8E21rocsparse_complex_numIfEEEviiiPKT0_S5_S5_PS3_.kd
    .uniform_work_group_size: 1
    .uses_dynamic_stack: false
    .vgpr_count:     32
    .vgpr_spill_count: 0
    .wavefront_size: 64
  - .agpr_count:     0
    .args:
      - .offset:         0
        .size:           4
        .value_kind:     by_value
      - .offset:         4
        .size:           4
        .value_kind:     by_value
      - .offset:         8
        .size:           4
        .value_kind:     by_value
      - .actual_access:  read_only
        .address_space:  global
        .offset:         16
        .size:           8
        .value_kind:     global_buffer
      - .actual_access:  read_only
        .address_space:  global
        .offset:         24
        .size:           8
        .value_kind:     global_buffer
      - .actual_access:  read_only
        .address_space:  global
        .offset:         32
        .size:           8
        .value_kind:     global_buffer
      - .address_space:  global
        .offset:         40
        .size:           8
        .value_kind:     global_buffer
    .group_segment_fixed_size: 640
    .kernarg_segment_align: 8
    .kernarg_segment_size: 48
    .language:       OpenCL C
    .language_version:
      - 2
      - 0
    .max_flat_workgroup_size: 16
    .name:           _ZN9rocsparseL44gtsv_nopivot_strided_batch_pcr_shared_kernelILj16E21rocsparse_complex_numIfEEEviiiPKT0_S5_S5_PS3_
    .private_segment_fixed_size: 0
    .sgpr_count:     16
    .sgpr_spill_count: 0
    .symbol:         _ZN9rocsparseL44gtsv_nopivot_strided_batch_pcr_shared_kernelILj16E21rocsparse_complex_numIfEEEviiiPKT0_S5_S5_PS3_.kd
    .uniform_work_group_size: 1
    .uses_dynamic_stack: false
    .vgpr_count:     32
    .vgpr_spill_count: 0
    .wavefront_size: 64
  - .agpr_count:     0
    .args:
      - .offset:         0
        .size:           4
        .value_kind:     by_value
      - .offset:         4
        .size:           4
        .value_kind:     by_value
      - .offset:         8
        .size:           4
        .value_kind:     by_value
      - .actual_access:  read_only
        .address_space:  global
        .offset:         16
        .size:           8
        .value_kind:     global_buffer
      - .actual_access:  read_only
        .address_space:  global
        .offset:         24
        .size:           8
        .value_kind:     global_buffer
      - .actual_access:  read_only
        .address_space:  global
        .offset:         32
        .size:           8
        .value_kind:     global_buffer
      - .address_space:  global
        .offset:         40
        .size:           8
        .value_kind:     global_buffer
    .group_segment_fixed_size: 1280
    .kernarg_segment_align: 8
    .kernarg_segment_size: 48
    .language:       OpenCL C
    .language_version:
      - 2
      - 0
    .max_flat_workgroup_size: 32
    .name:           _ZN9rocsparseL44gtsv_nopivot_strided_batch_pcr_shared_kernelILj32E21rocsparse_complex_numIfEEEviiiPKT0_S5_S5_PS3_
    .private_segment_fixed_size: 0
    .sgpr_count:     16
    .sgpr_spill_count: 0
    .symbol:         _ZN9rocsparseL44gtsv_nopivot_strided_batch_pcr_shared_kernelILj32E21rocsparse_complex_numIfEEEviiiPKT0_S5_S5_PS3_.kd
    .uniform_work_group_size: 1
    .uses_dynamic_stack: false
    .vgpr_count:     32
    .vgpr_spill_count: 0
    .wavefront_size: 64
  - .agpr_count:     0
    .args:
      - .offset:         0
        .size:           4
        .value_kind:     by_value
      - .offset:         4
        .size:           4
        .value_kind:     by_value
      - .offset:         8
        .size:           4
        .value_kind:     by_value
      - .actual_access:  read_only
        .address_space:  global
        .offset:         16
        .size:           8
        .value_kind:     global_buffer
      - .actual_access:  read_only
        .address_space:  global
        .offset:         24
        .size:           8
        .value_kind:     global_buffer
      - .actual_access:  read_only
        .address_space:  global
        .offset:         32
        .size:           8
        .value_kind:     global_buffer
      - .address_space:  global
        .offset:         40
        .size:           8
        .value_kind:     global_buffer
    .group_segment_fixed_size: 2560
    .kernarg_segment_align: 8
    .kernarg_segment_size: 48
    .language:       OpenCL C
    .language_version:
      - 2
      - 0
    .max_flat_workgroup_size: 64
    .name:           _ZN9rocsparseL44gtsv_nopivot_strided_batch_pcr_shared_kernelILj64E21rocsparse_complex_numIfEEEviiiPKT0_S5_S5_PS3_
    .private_segment_fixed_size: 0
    .sgpr_count:     16
    .sgpr_spill_count: 0
    .symbol:         _ZN9rocsparseL44gtsv_nopivot_strided_batch_pcr_shared_kernelILj64E21rocsparse_complex_numIfEEEviiiPKT0_S5_S5_PS3_.kd
    .uniform_work_group_size: 1
    .uses_dynamic_stack: false
    .vgpr_count:     32
    .vgpr_spill_count: 0
    .wavefront_size: 64
  - .agpr_count:     0
    .args:
      - .offset:         0
        .size:           4
        .value_kind:     by_value
      - .offset:         4
        .size:           4
        .value_kind:     by_value
      - .offset:         8
        .size:           4
        .value_kind:     by_value
      - .actual_access:  read_only
        .address_space:  global
        .offset:         16
        .size:           8
        .value_kind:     global_buffer
      - .actual_access:  read_only
        .address_space:  global
        .offset:         24
        .size:           8
        .value_kind:     global_buffer
      - .actual_access:  read_only
        .address_space:  global
        .offset:         32
        .size:           8
        .value_kind:     global_buffer
      - .address_space:  global
        .offset:         40
        .size:           8
        .value_kind:     global_buffer
    .group_segment_fixed_size: 5120
    .kernarg_segment_align: 8
    .kernarg_segment_size: 48
    .language:       OpenCL C
    .language_version:
      - 2
      - 0
    .max_flat_workgroup_size: 128
    .name:           _ZN9rocsparseL44gtsv_nopivot_strided_batch_pcr_shared_kernelILj128E21rocsparse_complex_numIfEEEviiiPKT0_S5_S5_PS3_
    .private_segment_fixed_size: 0
    .sgpr_count:     16
    .sgpr_spill_count: 0
    .symbol:         _ZN9rocsparseL44gtsv_nopivot_strided_batch_pcr_shared_kernelILj128E21rocsparse_complex_numIfEEEviiiPKT0_S5_S5_PS3_.kd
    .uniform_work_group_size: 1
    .uses_dynamic_stack: false
    .vgpr_count:     32
    .vgpr_spill_count: 0
    .wavefront_size: 64
  - .agpr_count:     0
    .args:
      - .offset:         0
        .size:           4
        .value_kind:     by_value
      - .offset:         4
        .size:           4
        .value_kind:     by_value
      - .offset:         8
        .size:           4
        .value_kind:     by_value
      - .actual_access:  read_only
        .address_space:  global
        .offset:         16
        .size:           8
        .value_kind:     global_buffer
      - .actual_access:  read_only
        .address_space:  global
        .offset:         24
        .size:           8
        .value_kind:     global_buffer
      - .actual_access:  read_only
        .address_space:  global
        .offset:         32
        .size:           8
        .value_kind:     global_buffer
      - .address_space:  global
        .offset:         40
        .size:           8
        .value_kind:     global_buffer
    .group_segment_fixed_size: 10240
    .kernarg_segment_align: 8
    .kernarg_segment_size: 48
    .language:       OpenCL C
    .language_version:
      - 2
      - 0
    .max_flat_workgroup_size: 256
    .name:           _ZN9rocsparseL44gtsv_nopivot_strided_batch_pcr_shared_kernelILj256E21rocsparse_complex_numIfEEEviiiPKT0_S5_S5_PS3_
    .private_segment_fixed_size: 0
    .sgpr_count:     16
    .sgpr_spill_count: 0
    .symbol:         _ZN9rocsparseL44gtsv_nopivot_strided_batch_pcr_shared_kernelILj256E21rocsparse_complex_numIfEEEviiiPKT0_S5_S5_PS3_.kd
    .uniform_work_group_size: 1
    .uses_dynamic_stack: false
    .vgpr_count:     32
    .vgpr_spill_count: 0
    .wavefront_size: 64
  - .agpr_count:     0
    .args:
      - .offset:         0
        .size:           4
        .value_kind:     by_value
      - .offset:         4
        .size:           4
        .value_kind:     by_value
      - .offset:         8
        .size:           4
        .value_kind:     by_value
      - .actual_access:  read_only
        .address_space:  global
        .offset:         16
        .size:           8
        .value_kind:     global_buffer
      - .actual_access:  read_only
        .address_space:  global
        .offset:         24
        .size:           8
        .value_kind:     global_buffer
      - .actual_access:  read_only
        .address_space:  global
        .offset:         32
        .size:           8
        .value_kind:     global_buffer
      - .address_space:  global
        .offset:         40
        .size:           8
        .value_kind:     global_buffer
    .group_segment_fixed_size: 20480
    .kernarg_segment_align: 8
    .kernarg_segment_size: 48
    .language:       OpenCL C
    .language_version:
      - 2
      - 0
    .max_flat_workgroup_size: 512
    .name:           _ZN9rocsparseL44gtsv_nopivot_strided_batch_pcr_shared_kernelILj512E21rocsparse_complex_numIfEEEviiiPKT0_S5_S5_PS3_
    .private_segment_fixed_size: 0
    .sgpr_count:     16
    .sgpr_spill_count: 0
    .symbol:         _ZN9rocsparseL44gtsv_nopivot_strided_batch_pcr_shared_kernelILj512E21rocsparse_complex_numIfEEEviiiPKT0_S5_S5_PS3_.kd
    .uniform_work_group_size: 1
    .uses_dynamic_stack: false
    .vgpr_count:     32
    .vgpr_spill_count: 0
    .wavefront_size: 64
  - .agpr_count:     0
    .args:
      - .offset:         0
        .size:           4
        .value_kind:     by_value
      - .offset:         4
        .size:           4
        .value_kind:     by_value
      - .offset:         8
        .size:           4
        .value_kind:     by_value
      - .offset:         12
        .size:           4
        .value_kind:     by_value
      - .actual_access:  read_only
        .address_space:  global
        .offset:         16
        .size:           8
        .value_kind:     global_buffer
      - .actual_access:  read_only
        .address_space:  global
        .offset:         24
        .size:           8
        .value_kind:     global_buffer
      - .actual_access:  read_only
        .address_space:  global
        .offset:         32
        .size:           8
        .value_kind:     global_buffer
      - .actual_access:  read_only
        .address_space:  global
        .offset:         40
        .size:           8
        .value_kind:     global_buffer
      - .actual_access:  write_only
        .address_space:  global
        .offset:         48
        .size:           8
        .value_kind:     global_buffer
      - .actual_access:  write_only
        .address_space:  global
        .offset:         56
        .size:           8
        .value_kind:     global_buffer
      - .actual_access:  write_only
        .address_space:  global
        .offset:         64
        .size:           8
        .value_kind:     global_buffer
      - .actual_access:  write_only
        .address_space:  global
        .offset:         72
        .size:           8
        .value_kind:     global_buffer
    .group_segment_fixed_size: 0
    .kernarg_segment_align: 8
    .kernarg_segment_size: 80
    .language:       OpenCL C
    .language_version:
      - 2
      - 0
    .max_flat_workgroup_size: 256
    .name:           _ZN9rocsparseL49gtsv_nopivot_strided_batch_pcr_pow2_stage1_kernelILj256E21rocsparse_complex_numIfEEEviiiiPKT0_S5_S5_S5_PS3_S6_S6_S6_
    .private_segment_fixed_size: 0
    .sgpr_count:     32
    .sgpr_spill_count: 0
    .symbol:         _ZN9rocsparseL49gtsv_nopivot_strided_batch_pcr_pow2_stage1_kernelILj256E21rocsparse_complex_numIfEEEviiiiPKT0_S5_S5_S5_PS3_S6_S6_S6_.kd
    .uniform_work_group_size: 1
    .uses_dynamic_stack: false
    .vgpr_count:     43
    .vgpr_spill_count: 0
    .wavefront_size: 64
  - .agpr_count:     0
    .args:
      - .offset:         0
        .size:           4
        .value_kind:     by_value
      - .offset:         4
        .size:           4
        .value_kind:     by_value
      - .offset:         8
        .size:           4
        .value_kind:     by_value
      - .actual_access:  read_only
        .address_space:  global
        .offset:         16
        .size:           8
        .value_kind:     global_buffer
      - .actual_access:  read_only
        .address_space:  global
        .offset:         24
        .size:           8
        .value_kind:     global_buffer
      - .actual_access:  read_only
        .address_space:  global
        .offset:         32
        .size:           8
        .value_kind:     global_buffer
      - .actual_access:  read_only
        .address_space:  global
        .offset:         40
        .size:           8
        .value_kind:     global_buffer
      - .actual_access:  write_only
        .address_space:  global
        .offset:         48
        .size:           8
        .value_kind:     global_buffer
      - .offset:         56
        .size:           4
        .value_kind:     hidden_block_count_x
      - .offset:         60
        .size:           4
        .value_kind:     hidden_block_count_y
      - .offset:         64
        .size:           4
        .value_kind:     hidden_block_count_z
      - .offset:         68
        .size:           2
        .value_kind:     hidden_group_size_x
      - .offset:         70
        .size:           2
        .value_kind:     hidden_group_size_y
      - .offset:         72
        .size:           2
        .value_kind:     hidden_group_size_z
      - .offset:         74
        .size:           2
        .value_kind:     hidden_remainder_x
      - .offset:         76
        .size:           2
        .value_kind:     hidden_remainder_y
      - .offset:         78
        .size:           2
        .value_kind:     hidden_remainder_z
      - .offset:         96
        .size:           8
        .value_kind:     hidden_global_offset_x
      - .offset:         104
        .size:           8
        .value_kind:     hidden_global_offset_y
      - .offset:         112
        .size:           8
        .value_kind:     hidden_global_offset_z
      - .offset:         120
        .size:           2
        .value_kind:     hidden_grid_dims
    .group_segment_fixed_size: 20480
    .kernarg_segment_align: 8
    .kernarg_segment_size: 312
    .language:       OpenCL C
    .language_version:
      - 2
      - 0
    .max_flat_workgroup_size: 256
    .name:           _ZN9rocsparseL48gtsv_nopivot_strided_batch_cr_pow2_stage2_kernelILj256E21rocsparse_complex_numIfEEEviiiPKT0_S5_S5_S5_PS3_
    .private_segment_fixed_size: 0
    .sgpr_count:     34
    .sgpr_spill_count: 0
    .symbol:         _ZN9rocsparseL48gtsv_nopivot_strided_batch_cr_pow2_stage2_kernelILj256E21rocsparse_complex_numIfEEEviiiPKT0_S5_S5_S5_PS3_.kd
    .uniform_work_group_size: 1
    .uses_dynamic_stack: false
    .vgpr_count:     32
    .vgpr_spill_count: 0
    .wavefront_size: 64
  - .agpr_count:     0
    .args:
      - .offset:         0
        .size:           4
        .value_kind:     by_value
      - .offset:         4
        .size:           4
        .value_kind:     by_value
      - .offset:         8
        .size:           4
        .value_kind:     by_value
      - .offset:         12
        .size:           4
        .value_kind:     by_value
      - .actual_access:  read_only
        .address_space:  global
        .offset:         16
        .size:           8
        .value_kind:     global_buffer
      - .actual_access:  read_only
        .address_space:  global
        .offset:         24
        .size:           8
        .value_kind:     global_buffer
      - .actual_access:  read_only
        .address_space:  global
        .offset:         32
        .size:           8
        .value_kind:     global_buffer
      - .actual_access:  read_only
        .address_space:  global
        .offset:         40
        .size:           8
        .value_kind:     global_buffer
      - .actual_access:  write_only
        .address_space:  global
        .offset:         48
        .size:           8
        .value_kind:     global_buffer
      - .actual_access:  write_only
        .address_space:  global
        .offset:         56
        .size:           8
        .value_kind:     global_buffer
      - .actual_access:  write_only
        .address_space:  global
        .offset:         64
        .size:           8
        .value_kind:     global_buffer
      - .actual_access:  write_only
        .address_space:  global
        .offset:         72
        .size:           8
        .value_kind:     global_buffer
    .group_segment_fixed_size: 0
    .kernarg_segment_align: 8
    .kernarg_segment_size: 80
    .language:       OpenCL C
    .language_version:
      - 2
      - 0
    .max_flat_workgroup_size: 256
    .name:           _ZN9rocsparseL44gtsv_nopivot_strided_batch_pcr_stage1_kernelILj256E21rocsparse_complex_numIfEEEviiiiPKT0_S5_S5_S5_PS3_S6_S6_S6_
    .private_segment_fixed_size: 0
    .sgpr_count:     32
    .sgpr_spill_count: 0
    .symbol:         _ZN9rocsparseL44gtsv_nopivot_strided_batch_pcr_stage1_kernelILj256E21rocsparse_complex_numIfEEEviiiiPKT0_S5_S5_S5_PS3_S6_S6_S6_.kd
    .uniform_work_group_size: 1
    .uses_dynamic_stack: false
    .vgpr_count:     42
    .vgpr_spill_count: 0
    .wavefront_size: 64
  - .agpr_count:     0
    .args:
      - .offset:         0
        .size:           4
        .value_kind:     by_value
      - .offset:         4
        .size:           4
        .value_kind:     by_value
      - .offset:         8
        .size:           4
        .value_kind:     by_value
      - .actual_access:  read_only
        .address_space:  global
        .offset:         16
        .size:           8
        .value_kind:     global_buffer
      - .actual_access:  read_only
        .address_space:  global
        .offset:         24
        .size:           8
        .value_kind:     global_buffer
      - .actual_access:  read_only
        .address_space:  global
        .offset:         32
        .size:           8
        .value_kind:     global_buffer
      - .actual_access:  read_only
        .address_space:  global
        .offset:         40
        .size:           8
        .value_kind:     global_buffer
      - .actual_access:  write_only
        .address_space:  global
        .offset:         48
        .size:           8
        .value_kind:     global_buffer
      - .offset:         56
        .size:           4
        .value_kind:     hidden_block_count_x
      - .offset:         60
        .size:           4
        .value_kind:     hidden_block_count_y
      - .offset:         64
        .size:           4
        .value_kind:     hidden_block_count_z
      - .offset:         68
        .size:           2
        .value_kind:     hidden_group_size_x
      - .offset:         70
        .size:           2
        .value_kind:     hidden_group_size_y
      - .offset:         72
        .size:           2
        .value_kind:     hidden_group_size_z
      - .offset:         74
        .size:           2
        .value_kind:     hidden_remainder_x
      - .offset:         76
        .size:           2
        .value_kind:     hidden_remainder_y
      - .offset:         78
        .size:           2
        .value_kind:     hidden_remainder_z
      - .offset:         96
        .size:           8
        .value_kind:     hidden_global_offset_x
      - .offset:         104
        .size:           8
        .value_kind:     hidden_global_offset_y
      - .offset:         112
        .size:           8
        .value_kind:     hidden_global_offset_z
      - .offset:         120
        .size:           2
        .value_kind:     hidden_grid_dims
    .group_segment_fixed_size: 20480
    .kernarg_segment_align: 8
    .kernarg_segment_size: 312
    .language:       OpenCL C
    .language_version:
      - 2
      - 0
    .max_flat_workgroup_size: 512
    .name:           _ZN9rocsparseL44gtsv_nopivot_strided_batch_pcr_stage2_kernelILj512E21rocsparse_complex_numIfEEEviiiPKT0_S5_S5_S5_PS3_
    .private_segment_fixed_size: 0
    .sgpr_count:     22
    .sgpr_spill_count: 0
    .symbol:         _ZN9rocsparseL44gtsv_nopivot_strided_batch_pcr_stage2_kernelILj512E21rocsparse_complex_numIfEEEviiiPKT0_S5_S5_S5_PS3_.kd
    .uniform_work_group_size: 1
    .uses_dynamic_stack: false
    .vgpr_count:     47
    .vgpr_spill_count: 0
    .wavefront_size: 64
  - .agpr_count:     0
    .args:
      - .offset:         0
        .size:           4
        .value_kind:     by_value
      - .offset:         4
        .size:           4
        .value_kind:     by_value
      - .offset:         8
        .size:           4
        .value_kind:     by_value
      - .actual_access:  read_only
        .address_space:  global
        .offset:         16
        .size:           8
        .value_kind:     global_buffer
      - .actual_access:  read_only
        .address_space:  global
        .offset:         24
        .size:           8
        .value_kind:     global_buffer
      - .actual_access:  read_only
        .address_space:  global
        .offset:         32
        .size:           8
        .value_kind:     global_buffer
      - .address_space:  global
        .offset:         40
        .size:           8
        .value_kind:     global_buffer
    .group_segment_fixed_size: 240
    .kernarg_segment_align: 8
    .kernarg_segment_size: 48
    .language:       OpenCL C
    .language_version:
      - 2
      - 0
    .max_flat_workgroup_size: 2
    .name:           _ZN9rocsparseL49gtsv_nopivot_strided_batch_pcr_pow2_shared_kernelILj2E21rocsparse_complex_numIdEEEviiiPKT0_S5_S5_PS3_
    .private_segment_fixed_size: 0
    .sgpr_count:     18
    .sgpr_spill_count: 0
    .symbol:         _ZN9rocsparseL49gtsv_nopivot_strided_batch_pcr_pow2_shared_kernelILj2E21rocsparse_complex_numIdEEEviiiPKT0_S5_S5_PS3_.kd
    .uniform_work_group_size: 1
    .uses_dynamic_stack: false
    .vgpr_count:     42
    .vgpr_spill_count: 0
    .wavefront_size: 64
  - .agpr_count:     0
    .args:
      - .offset:         0
        .size:           4
        .value_kind:     by_value
      - .offset:         4
        .size:           4
        .value_kind:     by_value
      - .offset:         8
        .size:           4
        .value_kind:     by_value
      - .actual_access:  read_only
        .address_space:  global
        .offset:         16
        .size:           8
        .value_kind:     global_buffer
      - .actual_access:  read_only
        .address_space:  global
        .offset:         24
        .size:           8
        .value_kind:     global_buffer
      - .actual_access:  read_only
        .address_space:  global
        .offset:         32
        .size:           8
        .value_kind:     global_buffer
      - .address_space:  global
        .offset:         40
        .size:           8
        .value_kind:     global_buffer
    .group_segment_fixed_size: 400
    .kernarg_segment_align: 8
    .kernarg_segment_size: 48
    .language:       OpenCL C
    .language_version:
      - 2
      - 0
    .max_flat_workgroup_size: 4
    .name:           _ZN9rocsparseL49gtsv_nopivot_strided_batch_pcr_pow2_shared_kernelILj4E21rocsparse_complex_numIdEEEviiiPKT0_S5_S5_PS3_
    .private_segment_fixed_size: 0
    .sgpr_count:     18
    .sgpr_spill_count: 0
    .symbol:         _ZN9rocsparseL49gtsv_nopivot_strided_batch_pcr_pow2_shared_kernelILj4E21rocsparse_complex_numIdEEEviiiPKT0_S5_S5_PS3_.kd
    .uniform_work_group_size: 1
    .uses_dynamic_stack: false
    .vgpr_count:     61
    .vgpr_spill_count: 0
    .wavefront_size: 64
  - .agpr_count:     0
    .args:
      - .offset:         0
        .size:           4
        .value_kind:     by_value
      - .offset:         4
        .size:           4
        .value_kind:     by_value
      - .offset:         8
        .size:           4
        .value_kind:     by_value
      - .actual_access:  read_only
        .address_space:  global
        .offset:         16
        .size:           8
        .value_kind:     global_buffer
      - .actual_access:  read_only
        .address_space:  global
        .offset:         24
        .size:           8
        .value_kind:     global_buffer
      - .actual_access:  read_only
        .address_space:  global
        .offset:         32
        .size:           8
        .value_kind:     global_buffer
      - .address_space:  global
        .offset:         40
        .size:           8
        .value_kind:     global_buffer
    .group_segment_fixed_size: 720
    .kernarg_segment_align: 8
    .kernarg_segment_size: 48
    .language:       OpenCL C
    .language_version:
      - 2
      - 0
    .max_flat_workgroup_size: 8
    .name:           _ZN9rocsparseL49gtsv_nopivot_strided_batch_pcr_pow2_shared_kernelILj8E21rocsparse_complex_numIdEEEviiiPKT0_S5_S5_PS3_
    .private_segment_fixed_size: 0
    .sgpr_count:     18
    .sgpr_spill_count: 0
    .symbol:         _ZN9rocsparseL49gtsv_nopivot_strided_batch_pcr_pow2_shared_kernelILj8E21rocsparse_complex_numIdEEEviiiPKT0_S5_S5_PS3_.kd
    .uniform_work_group_size: 1
    .uses_dynamic_stack: false
    .vgpr_count:     61
    .vgpr_spill_count: 0
    .wavefront_size: 64
  - .agpr_count:     0
    .args:
      - .offset:         0
        .size:           4
        .value_kind:     by_value
      - .offset:         4
        .size:           4
        .value_kind:     by_value
      - .offset:         8
        .size:           4
        .value_kind:     by_value
      - .actual_access:  read_only
        .address_space:  global
        .offset:         16
        .size:           8
        .value_kind:     global_buffer
      - .actual_access:  read_only
        .address_space:  global
        .offset:         24
        .size:           8
        .value_kind:     global_buffer
      - .actual_access:  read_only
        .address_space:  global
        .offset:         32
        .size:           8
        .value_kind:     global_buffer
      - .address_space:  global
        .offset:         40
        .size:           8
        .value_kind:     global_buffer
    .group_segment_fixed_size: 1360
    .kernarg_segment_align: 8
    .kernarg_segment_size: 48
    .language:       OpenCL C
    .language_version:
      - 2
      - 0
    .max_flat_workgroup_size: 16
    .name:           _ZN9rocsparseL49gtsv_nopivot_strided_batch_pcr_pow2_shared_kernelILj16E21rocsparse_complex_numIdEEEviiiPKT0_S5_S5_PS3_
    .private_segment_fixed_size: 0
    .sgpr_count:     18
    .sgpr_spill_count: 0
    .symbol:         _ZN9rocsparseL49gtsv_nopivot_strided_batch_pcr_pow2_shared_kernelILj16E21rocsparse_complex_numIdEEEviiiPKT0_S5_S5_PS3_.kd
    .uniform_work_group_size: 1
    .uses_dynamic_stack: false
    .vgpr_count:     61
    .vgpr_spill_count: 0
    .wavefront_size: 64
  - .agpr_count:     0
    .args:
      - .offset:         0
        .size:           4
        .value_kind:     by_value
      - .offset:         4
        .size:           4
        .value_kind:     by_value
      - .offset:         8
        .size:           4
        .value_kind:     by_value
      - .actual_access:  read_only
        .address_space:  global
        .offset:         16
        .size:           8
        .value_kind:     global_buffer
      - .actual_access:  read_only
        .address_space:  global
        .offset:         24
        .size:           8
        .value_kind:     global_buffer
      - .actual_access:  read_only
        .address_space:  global
        .offset:         32
        .size:           8
        .value_kind:     global_buffer
      - .address_space:  global
        .offset:         40
        .size:           8
        .value_kind:     global_buffer
    .group_segment_fixed_size: 2640
    .kernarg_segment_align: 8
    .kernarg_segment_size: 48
    .language:       OpenCL C
    .language_version:
      - 2
      - 0
    .max_flat_workgroup_size: 32
    .name:           _ZN9rocsparseL49gtsv_nopivot_strided_batch_pcr_pow2_shared_kernelILj32E21rocsparse_complex_numIdEEEviiiPKT0_S5_S5_PS3_
    .private_segment_fixed_size: 0
    .sgpr_count:     18
    .sgpr_spill_count: 0
    .symbol:         _ZN9rocsparseL49gtsv_nopivot_strided_batch_pcr_pow2_shared_kernelILj32E21rocsparse_complex_numIdEEEviiiPKT0_S5_S5_PS3_.kd
    .uniform_work_group_size: 1
    .uses_dynamic_stack: false
    .vgpr_count:     60
    .vgpr_spill_count: 0
    .wavefront_size: 64
  - .agpr_count:     0
    .args:
      - .offset:         0
        .size:           4
        .value_kind:     by_value
      - .offset:         4
        .size:           4
        .value_kind:     by_value
      - .offset:         8
        .size:           4
        .value_kind:     by_value
      - .actual_access:  read_only
        .address_space:  global
        .offset:         16
        .size:           8
        .value_kind:     global_buffer
      - .actual_access:  read_only
        .address_space:  global
        .offset:         24
        .size:           8
        .value_kind:     global_buffer
      - .actual_access:  read_only
        .address_space:  global
        .offset:         32
        .size:           8
        .value_kind:     global_buffer
      - .address_space:  global
        .offset:         40
        .size:           8
        .value_kind:     global_buffer
    .group_segment_fixed_size: 5200
    .kernarg_segment_align: 8
    .kernarg_segment_size: 48
    .language:       OpenCL C
    .language_version:
      - 2
      - 0
    .max_flat_workgroup_size: 64
    .name:           _ZN9rocsparseL49gtsv_nopivot_strided_batch_pcr_pow2_shared_kernelILj64E21rocsparse_complex_numIdEEEviiiPKT0_S5_S5_PS3_
    .private_segment_fixed_size: 0
    .sgpr_count:     18
    .sgpr_spill_count: 0
    .symbol:         _ZN9rocsparseL49gtsv_nopivot_strided_batch_pcr_pow2_shared_kernelILj64E21rocsparse_complex_numIdEEEviiiPKT0_S5_S5_PS3_.kd
    .uniform_work_group_size: 1
    .uses_dynamic_stack: false
    .vgpr_count:     60
    .vgpr_spill_count: 0
    .wavefront_size: 64
  - .agpr_count:     0
    .args:
      - .offset:         0
        .size:           4
        .value_kind:     by_value
      - .offset:         4
        .size:           4
        .value_kind:     by_value
      - .offset:         8
        .size:           4
        .value_kind:     by_value
      - .actual_access:  read_only
        .address_space:  global
        .offset:         16
        .size:           8
        .value_kind:     global_buffer
      - .actual_access:  read_only
        .address_space:  global
        .offset:         24
        .size:           8
        .value_kind:     global_buffer
      - .actual_access:  read_only
        .address_space:  global
        .offset:         32
        .size:           8
        .value_kind:     global_buffer
      - .address_space:  global
        .offset:         40
        .size:           8
        .value_kind:     global_buffer
    .group_segment_fixed_size: 15360
    .kernarg_segment_align: 8
    .kernarg_segment_size: 48
    .language:       OpenCL C
    .language_version:
      - 2
      - 0
    .max_flat_workgroup_size: 64
    .name:           _ZN9rocsparseL51gtsv_nopivot_strided_batch_crpcr_pow2_shared_kernelILj64ELj64E21rocsparse_complex_numIdEEEviiiPKT1_S5_S5_PS3_
    .private_segment_fixed_size: 0
    .sgpr_count:     18
    .sgpr_spill_count: 0
    .symbol:         _ZN9rocsparseL51gtsv_nopivot_strided_batch_crpcr_pow2_shared_kernelILj64ELj64E21rocsparse_complex_numIdEEEviiiPKT1_S5_S5_PS3_.kd
    .uniform_work_group_size: 1
    .uses_dynamic_stack: false
    .vgpr_count:     51
    .vgpr_spill_count: 0
    .wavefront_size: 64
  - .agpr_count:     0
    .args:
      - .offset:         0
        .size:           4
        .value_kind:     by_value
      - .offset:         4
        .size:           4
        .value_kind:     by_value
      - .offset:         8
        .size:           4
        .value_kind:     by_value
      - .actual_access:  read_only
        .address_space:  global
        .offset:         16
        .size:           8
        .value_kind:     global_buffer
      - .actual_access:  read_only
        .address_space:  global
        .offset:         24
        .size:           8
        .value_kind:     global_buffer
      - .actual_access:  read_only
        .address_space:  global
        .offset:         32
        .size:           8
        .value_kind:     global_buffer
      - .address_space:  global
        .offset:         40
        .size:           8
        .value_kind:     global_buffer
    .group_segment_fixed_size: 25600
    .kernarg_segment_align: 8
    .kernarg_segment_size: 48
    .language:       OpenCL C
    .language_version:
      - 2
      - 0
    .max_flat_workgroup_size: 128
    .name:           _ZN9rocsparseL51gtsv_nopivot_strided_batch_crpcr_pow2_shared_kernelILj128ELj64E21rocsparse_complex_numIdEEEviiiPKT1_S5_S5_PS3_
    .private_segment_fixed_size: 0
    .sgpr_count:     18
    .sgpr_spill_count: 0
    .symbol:         _ZN9rocsparseL51gtsv_nopivot_strided_batch_crpcr_pow2_shared_kernelILj128ELj64E21rocsparse_complex_numIdEEEviiiPKT1_S5_S5_PS3_.kd
    .uniform_work_group_size: 1
    .uses_dynamic_stack: false
    .vgpr_count:     49
    .vgpr_spill_count: 0
    .wavefront_size: 64
  - .agpr_count:     0
    .args:
      - .offset:         0
        .size:           4
        .value_kind:     by_value
      - .offset:         4
        .size:           4
        .value_kind:     by_value
      - .offset:         8
        .size:           4
        .value_kind:     by_value
      - .actual_access:  read_only
        .address_space:  global
        .offset:         16
        .size:           8
        .value_kind:     global_buffer
      - .actual_access:  read_only
        .address_space:  global
        .offset:         24
        .size:           8
        .value_kind:     global_buffer
      - .actual_access:  read_only
        .address_space:  global
        .offset:         32
        .size:           8
        .value_kind:     global_buffer
      - .address_space:  global
        .offset:         40
        .size:           8
        .value_kind:     global_buffer
    .group_segment_fixed_size: 46080
    .kernarg_segment_align: 8
    .kernarg_segment_size: 48
    .language:       OpenCL C
    .language_version:
      - 2
      - 0
    .max_flat_workgroup_size: 256
    .name:           _ZN9rocsparseL51gtsv_nopivot_strided_batch_crpcr_pow2_shared_kernelILj256ELj64E21rocsparse_complex_numIdEEEviiiPKT1_S5_S5_PS3_
    .private_segment_fixed_size: 0
    .sgpr_count:     18
    .sgpr_spill_count: 0
    .symbol:         _ZN9rocsparseL51gtsv_nopivot_strided_batch_crpcr_pow2_shared_kernelILj256ELj64E21rocsparse_complex_numIdEEEviiiPKT1_S5_S5_PS3_.kd
    .uniform_work_group_size: 1
    .uses_dynamic_stack: false
    .vgpr_count:     49
    .vgpr_spill_count: 0
    .wavefront_size: 64
  - .agpr_count:     0
    .args:
      - .offset:         0
        .size:           4
        .value_kind:     by_value
      - .offset:         4
        .size:           4
        .value_kind:     by_value
      - .offset:         8
        .size:           4
        .value_kind:     by_value
      - .actual_access:  read_only
        .address_space:  global
        .offset:         16
        .size:           8
        .value_kind:     global_buffer
      - .actual_access:  read_only
        .address_space:  global
        .offset:         24
        .size:           8
        .value_kind:     global_buffer
      - .actual_access:  read_only
        .address_space:  global
        .offset:         32
        .size:           8
        .value_kind:     global_buffer
      - .address_space:  global
        .offset:         40
        .size:           8
        .value_kind:     global_buffer
    .group_segment_fixed_size: 320
    .kernarg_segment_align: 8
    .kernarg_segment_size: 48
    .language:       OpenCL C
    .language_version:
      - 2
      - 0
    .max_flat_workgroup_size: 4
    .name:           _ZN9rocsparseL44gtsv_nopivot_strided_batch_pcr_shared_kernelILj4E21rocsparse_complex_numIdEEEviiiPKT0_S5_S5_PS3_
    .private_segment_fixed_size: 0
    .sgpr_count:     16
    .sgpr_spill_count: 0
    .symbol:         _ZN9rocsparseL44gtsv_nopivot_strided_batch_pcr_shared_kernelILj4E21rocsparse_complex_numIdEEEviiiPKT0_S5_S5_PS3_.kd
    .uniform_work_group_size: 1
    .uses_dynamic_stack: false
    .vgpr_count:     44
    .vgpr_spill_count: 0
    .wavefront_size: 64
  - .agpr_count:     0
    .args:
      - .offset:         0
        .size:           4
        .value_kind:     by_value
      - .offset:         4
        .size:           4
        .value_kind:     by_value
      - .offset:         8
        .size:           4
        .value_kind:     by_value
      - .actual_access:  read_only
        .address_space:  global
        .offset:         16
        .size:           8
        .value_kind:     global_buffer
      - .actual_access:  read_only
        .address_space:  global
        .offset:         24
        .size:           8
        .value_kind:     global_buffer
      - .actual_access:  read_only
        .address_space:  global
        .offset:         32
        .size:           8
        .value_kind:     global_buffer
      - .address_space:  global
        .offset:         40
        .size:           8
        .value_kind:     global_buffer
    .group_segment_fixed_size: 640
    .kernarg_segment_align: 8
    .kernarg_segment_size: 48
    .language:       OpenCL C
    .language_version:
      - 2
      - 0
    .max_flat_workgroup_size: 8
    .name:           _ZN9rocsparseL44gtsv_nopivot_strided_batch_pcr_shared_kernelILj8E21rocsparse_complex_numIdEEEviiiPKT0_S5_S5_PS3_
    .private_segment_fixed_size: 0
    .sgpr_count:     16
    .sgpr_spill_count: 0
    .symbol:         _ZN9rocsparseL44gtsv_nopivot_strided_batch_pcr_shared_kernelILj8E21rocsparse_complex_numIdEEEviiiPKT0_S5_S5_PS3_.kd
    .uniform_work_group_size: 1
    .uses_dynamic_stack: false
    .vgpr_count:     44
    .vgpr_spill_count: 0
    .wavefront_size: 64
  - .agpr_count:     0
    .args:
      - .offset:         0
        .size:           4
        .value_kind:     by_value
      - .offset:         4
        .size:           4
        .value_kind:     by_value
      - .offset:         8
        .size:           4
        .value_kind:     by_value
      - .actual_access:  read_only
        .address_space:  global
        .offset:         16
        .size:           8
        .value_kind:     global_buffer
      - .actual_access:  read_only
        .address_space:  global
        .offset:         24
        .size:           8
        .value_kind:     global_buffer
      - .actual_access:  read_only
        .address_space:  global
        .offset:         32
        .size:           8
        .value_kind:     global_buffer
      - .address_space:  global
        .offset:         40
        .size:           8
        .value_kind:     global_buffer
    .group_segment_fixed_size: 1280
    .kernarg_segment_align: 8
    .kernarg_segment_size: 48
    .language:       OpenCL C
    .language_version:
      - 2
      - 0
    .max_flat_workgroup_size: 16
    .name:           _ZN9rocsparseL44gtsv_nopivot_strided_batch_pcr_shared_kernelILj16E21rocsparse_complex_numIdEEEviiiPKT0_S5_S5_PS3_
    .private_segment_fixed_size: 0
    .sgpr_count:     16
    .sgpr_spill_count: 0
    .symbol:         _ZN9rocsparseL44gtsv_nopivot_strided_batch_pcr_shared_kernelILj16E21rocsparse_complex_numIdEEEviiiPKT0_S5_S5_PS3_.kd
    .uniform_work_group_size: 1
    .uses_dynamic_stack: false
    .vgpr_count:     44
    .vgpr_spill_count: 0
    .wavefront_size: 64
  - .agpr_count:     0
    .args:
      - .offset:         0
        .size:           4
        .value_kind:     by_value
      - .offset:         4
        .size:           4
        .value_kind:     by_value
      - .offset:         8
        .size:           4
        .value_kind:     by_value
      - .actual_access:  read_only
        .address_space:  global
        .offset:         16
        .size:           8
        .value_kind:     global_buffer
      - .actual_access:  read_only
        .address_space:  global
        .offset:         24
        .size:           8
        .value_kind:     global_buffer
      - .actual_access:  read_only
        .address_space:  global
        .offset:         32
        .size:           8
        .value_kind:     global_buffer
      - .address_space:  global
        .offset:         40
        .size:           8
        .value_kind:     global_buffer
    .group_segment_fixed_size: 2560
    .kernarg_segment_align: 8
    .kernarg_segment_size: 48
    .language:       OpenCL C
    .language_version:
      - 2
      - 0
    .max_flat_workgroup_size: 32
    .name:           _ZN9rocsparseL44gtsv_nopivot_strided_batch_pcr_shared_kernelILj32E21rocsparse_complex_numIdEEEviiiPKT0_S5_S5_PS3_
    .private_segment_fixed_size: 0
    .sgpr_count:     16
    .sgpr_spill_count: 0
    .symbol:         _ZN9rocsparseL44gtsv_nopivot_strided_batch_pcr_shared_kernelILj32E21rocsparse_complex_numIdEEEviiiPKT0_S5_S5_PS3_.kd
    .uniform_work_group_size: 1
    .uses_dynamic_stack: false
    .vgpr_count:     44
    .vgpr_spill_count: 0
    .wavefront_size: 64
  - .agpr_count:     0
    .args:
      - .offset:         0
        .size:           4
        .value_kind:     by_value
      - .offset:         4
        .size:           4
        .value_kind:     by_value
      - .offset:         8
        .size:           4
        .value_kind:     by_value
      - .actual_access:  read_only
        .address_space:  global
        .offset:         16
        .size:           8
        .value_kind:     global_buffer
      - .actual_access:  read_only
        .address_space:  global
        .offset:         24
        .size:           8
        .value_kind:     global_buffer
      - .actual_access:  read_only
        .address_space:  global
        .offset:         32
        .size:           8
        .value_kind:     global_buffer
      - .address_space:  global
        .offset:         40
        .size:           8
        .value_kind:     global_buffer
    .group_segment_fixed_size: 5120
    .kernarg_segment_align: 8
    .kernarg_segment_size: 48
    .language:       OpenCL C
    .language_version:
      - 2
      - 0
    .max_flat_workgroup_size: 64
    .name:           _ZN9rocsparseL44gtsv_nopivot_strided_batch_pcr_shared_kernelILj64E21rocsparse_complex_numIdEEEviiiPKT0_S5_S5_PS3_
    .private_segment_fixed_size: 0
    .sgpr_count:     16
    .sgpr_spill_count: 0
    .symbol:         _ZN9rocsparseL44gtsv_nopivot_strided_batch_pcr_shared_kernelILj64E21rocsparse_complex_numIdEEEviiiPKT0_S5_S5_PS3_.kd
    .uniform_work_group_size: 1
    .uses_dynamic_stack: false
    .vgpr_count:     44
    .vgpr_spill_count: 0
    .wavefront_size: 64
  - .agpr_count:     0
    .args:
      - .offset:         0
        .size:           4
        .value_kind:     by_value
      - .offset:         4
        .size:           4
        .value_kind:     by_value
      - .offset:         8
        .size:           4
        .value_kind:     by_value
      - .actual_access:  read_only
        .address_space:  global
        .offset:         16
        .size:           8
        .value_kind:     global_buffer
      - .actual_access:  read_only
        .address_space:  global
        .offset:         24
        .size:           8
        .value_kind:     global_buffer
      - .actual_access:  read_only
        .address_space:  global
        .offset:         32
        .size:           8
        .value_kind:     global_buffer
      - .address_space:  global
        .offset:         40
        .size:           8
        .value_kind:     global_buffer
    .group_segment_fixed_size: 10240
    .kernarg_segment_align: 8
    .kernarg_segment_size: 48
    .language:       OpenCL C
    .language_version:
      - 2
      - 0
    .max_flat_workgroup_size: 128
    .name:           _ZN9rocsparseL44gtsv_nopivot_strided_batch_pcr_shared_kernelILj128E21rocsparse_complex_numIdEEEviiiPKT0_S5_S5_PS3_
    .private_segment_fixed_size: 0
    .sgpr_count:     16
    .sgpr_spill_count: 0
    .symbol:         _ZN9rocsparseL44gtsv_nopivot_strided_batch_pcr_shared_kernelILj128E21rocsparse_complex_numIdEEEviiiPKT0_S5_S5_PS3_.kd
    .uniform_work_group_size: 1
    .uses_dynamic_stack: false
    .vgpr_count:     44
    .vgpr_spill_count: 0
    .wavefront_size: 64
  - .agpr_count:     0
    .args:
      - .offset:         0
        .size:           4
        .value_kind:     by_value
      - .offset:         4
        .size:           4
        .value_kind:     by_value
      - .offset:         8
        .size:           4
        .value_kind:     by_value
      - .actual_access:  read_only
        .address_space:  global
        .offset:         16
        .size:           8
        .value_kind:     global_buffer
      - .actual_access:  read_only
        .address_space:  global
        .offset:         24
        .size:           8
        .value_kind:     global_buffer
      - .actual_access:  read_only
        .address_space:  global
        .offset:         32
        .size:           8
        .value_kind:     global_buffer
      - .address_space:  global
        .offset:         40
        .size:           8
        .value_kind:     global_buffer
    .group_segment_fixed_size: 20480
    .kernarg_segment_align: 8
    .kernarg_segment_size: 48
    .language:       OpenCL C
    .language_version:
      - 2
      - 0
    .max_flat_workgroup_size: 256
    .name:           _ZN9rocsparseL44gtsv_nopivot_strided_batch_pcr_shared_kernelILj256E21rocsparse_complex_numIdEEEviiiPKT0_S5_S5_PS3_
    .private_segment_fixed_size: 0
    .sgpr_count:     16
    .sgpr_spill_count: 0
    .symbol:         _ZN9rocsparseL44gtsv_nopivot_strided_batch_pcr_shared_kernelILj256E21rocsparse_complex_numIdEEEviiiPKT0_S5_S5_PS3_.kd
    .uniform_work_group_size: 1
    .uses_dynamic_stack: false
    .vgpr_count:     44
    .vgpr_spill_count: 0
    .wavefront_size: 64
  - .agpr_count:     0
    .args:
      - .offset:         0
        .size:           4
        .value_kind:     by_value
      - .offset:         4
        .size:           4
        .value_kind:     by_value
      - .offset:         8
        .size:           4
        .value_kind:     by_value
      - .actual_access:  read_only
        .address_space:  global
        .offset:         16
        .size:           8
        .value_kind:     global_buffer
      - .actual_access:  read_only
        .address_space:  global
        .offset:         24
        .size:           8
        .value_kind:     global_buffer
      - .actual_access:  read_only
        .address_space:  global
        .offset:         32
        .size:           8
        .value_kind:     global_buffer
      - .address_space:  global
        .offset:         40
        .size:           8
        .value_kind:     global_buffer
    .group_segment_fixed_size: 40960
    .kernarg_segment_align: 8
    .kernarg_segment_size: 48
    .language:       OpenCL C
    .language_version:
      - 2
      - 0
    .max_flat_workgroup_size: 512
    .name:           _ZN9rocsparseL44gtsv_nopivot_strided_batch_pcr_shared_kernelILj512E21rocsparse_complex_numIdEEEviiiPKT0_S5_S5_PS3_
    .private_segment_fixed_size: 0
    .sgpr_count:     16
    .sgpr_spill_count: 0
    .symbol:         _ZN9rocsparseL44gtsv_nopivot_strided_batch_pcr_shared_kernelILj512E21rocsparse_complex_numIdEEEviiiPKT0_S5_S5_PS3_.kd
    .uniform_work_group_size: 1
    .uses_dynamic_stack: false
    .vgpr_count:     43
    .vgpr_spill_count: 0
    .wavefront_size: 64
  - .agpr_count:     0
    .args:
      - .offset:         0
        .size:           4
        .value_kind:     by_value
      - .offset:         4
        .size:           4
        .value_kind:     by_value
      - .offset:         8
        .size:           4
        .value_kind:     by_value
      - .offset:         12
        .size:           4
        .value_kind:     by_value
      - .actual_access:  read_only
        .address_space:  global
        .offset:         16
        .size:           8
        .value_kind:     global_buffer
      - .actual_access:  read_only
        .address_space:  global
        .offset:         24
        .size:           8
        .value_kind:     global_buffer
      - .actual_access:  read_only
        .address_space:  global
        .offset:         32
        .size:           8
        .value_kind:     global_buffer
      - .actual_access:  read_only
        .address_space:  global
        .offset:         40
        .size:           8
        .value_kind:     global_buffer
      - .actual_access:  write_only
        .address_space:  global
        .offset:         48
        .size:           8
        .value_kind:     global_buffer
      - .actual_access:  write_only
        .address_space:  global
        .offset:         56
        .size:           8
        .value_kind:     global_buffer
      - .actual_access:  write_only
        .address_space:  global
        .offset:         64
        .size:           8
        .value_kind:     global_buffer
      - .actual_access:  write_only
        .address_space:  global
        .offset:         72
        .size:           8
        .value_kind:     global_buffer
    .group_segment_fixed_size: 0
    .kernarg_segment_align: 8
    .kernarg_segment_size: 80
    .language:       OpenCL C
    .language_version:
      - 2
      - 0
    .max_flat_workgroup_size: 256
    .name:           _ZN9rocsparseL49gtsv_nopivot_strided_batch_pcr_pow2_stage1_kernelILj256E21rocsparse_complex_numIdEEEviiiiPKT0_S5_S5_S5_PS3_S6_S6_S6_
    .private_segment_fixed_size: 0
    .sgpr_count:     32
    .sgpr_spill_count: 0
    .symbol:         _ZN9rocsparseL49gtsv_nopivot_strided_batch_pcr_pow2_stage1_kernelILj256E21rocsparse_complex_numIdEEEviiiiPKT0_S5_S5_S5_PS3_S6_S6_S6_.kd
    .uniform_work_group_size: 1
    .uses_dynamic_stack: false
    .vgpr_count:     60
    .vgpr_spill_count: 0
    .wavefront_size: 64
  - .agpr_count:     0
    .args:
      - .offset:         0
        .size:           4
        .value_kind:     by_value
      - .offset:         4
        .size:           4
        .value_kind:     by_value
      - .offset:         8
        .size:           4
        .value_kind:     by_value
      - .actual_access:  read_only
        .address_space:  global
        .offset:         16
        .size:           8
        .value_kind:     global_buffer
      - .actual_access:  read_only
        .address_space:  global
        .offset:         24
        .size:           8
        .value_kind:     global_buffer
      - .actual_access:  read_only
        .address_space:  global
        .offset:         32
        .size:           8
        .value_kind:     global_buffer
      - .actual_access:  read_only
        .address_space:  global
        .offset:         40
        .size:           8
        .value_kind:     global_buffer
      - .actual_access:  write_only
        .address_space:  global
        .offset:         48
        .size:           8
        .value_kind:     global_buffer
      - .offset:         56
        .size:           4
        .value_kind:     hidden_block_count_x
      - .offset:         60
        .size:           4
        .value_kind:     hidden_block_count_y
      - .offset:         64
        .size:           4
        .value_kind:     hidden_block_count_z
      - .offset:         68
        .size:           2
        .value_kind:     hidden_group_size_x
      - .offset:         70
        .size:           2
        .value_kind:     hidden_group_size_y
      - .offset:         72
        .size:           2
        .value_kind:     hidden_group_size_z
      - .offset:         74
        .size:           2
        .value_kind:     hidden_remainder_x
      - .offset:         76
        .size:           2
        .value_kind:     hidden_remainder_y
      - .offset:         78
        .size:           2
        .value_kind:     hidden_remainder_z
      - .offset:         96
        .size:           8
        .value_kind:     hidden_global_offset_x
      - .offset:         104
        .size:           8
        .value_kind:     hidden_global_offset_y
      - .offset:         112
        .size:           8
        .value_kind:     hidden_global_offset_z
      - .offset:         120
        .size:           2
        .value_kind:     hidden_grid_dims
    .group_segment_fixed_size: 40960
    .kernarg_segment_align: 8
    .kernarg_segment_size: 312
    .language:       OpenCL C
    .language_version:
      - 2
      - 0
    .max_flat_workgroup_size: 256
    .name:           _ZN9rocsparseL48gtsv_nopivot_strided_batch_cr_pow2_stage2_kernelILj256E21rocsparse_complex_numIdEEEviiiPKT0_S5_S5_S5_PS3_
    .private_segment_fixed_size: 0
    .sgpr_count:     34
    .sgpr_spill_count: 0
    .symbol:         _ZN9rocsparseL48gtsv_nopivot_strided_batch_cr_pow2_stage2_kernelILj256E21rocsparse_complex_numIdEEEviiiPKT0_S5_S5_S5_PS3_.kd
    .uniform_work_group_size: 1
    .uses_dynamic_stack: false
    .vgpr_count:     48
    .vgpr_spill_count: 0
    .wavefront_size: 64
  - .agpr_count:     0
    .args:
      - .offset:         0
        .size:           4
        .value_kind:     by_value
      - .offset:         4
        .size:           4
        .value_kind:     by_value
      - .offset:         8
        .size:           4
        .value_kind:     by_value
      - .offset:         12
        .size:           4
        .value_kind:     by_value
      - .actual_access:  read_only
        .address_space:  global
        .offset:         16
        .size:           8
        .value_kind:     global_buffer
      - .actual_access:  read_only
        .address_space:  global
        .offset:         24
        .size:           8
        .value_kind:     global_buffer
      - .actual_access:  read_only
        .address_space:  global
        .offset:         32
        .size:           8
        .value_kind:     global_buffer
      - .actual_access:  read_only
        .address_space:  global
        .offset:         40
        .size:           8
        .value_kind:     global_buffer
      - .actual_access:  write_only
        .address_space:  global
        .offset:         48
        .size:           8
        .value_kind:     global_buffer
      - .actual_access:  write_only
        .address_space:  global
        .offset:         56
        .size:           8
        .value_kind:     global_buffer
      - .actual_access:  write_only
        .address_space:  global
        .offset:         64
        .size:           8
        .value_kind:     global_buffer
      - .actual_access:  write_only
        .address_space:  global
        .offset:         72
        .size:           8
        .value_kind:     global_buffer
    .group_segment_fixed_size: 0
    .kernarg_segment_align: 8
    .kernarg_segment_size: 80
    .language:       OpenCL C
    .language_version:
      - 2
      - 0
    .max_flat_workgroup_size: 256
    .name:           _ZN9rocsparseL44gtsv_nopivot_strided_batch_pcr_stage1_kernelILj256E21rocsparse_complex_numIdEEEviiiiPKT0_S5_S5_S5_PS3_S6_S6_S6_
    .private_segment_fixed_size: 0
    .sgpr_count:     34
    .sgpr_spill_count: 0
    .symbol:         _ZN9rocsparseL44gtsv_nopivot_strided_batch_pcr_stage1_kernelILj256E21rocsparse_complex_numIdEEEviiiiPKT0_S5_S5_S5_PS3_S6_S6_S6_.kd
    .uniform_work_group_size: 1
    .uses_dynamic_stack: false
    .vgpr_count:     60
    .vgpr_spill_count: 0
    .wavefront_size: 64
  - .agpr_count:     0
    .args:
      - .offset:         0
        .size:           4
        .value_kind:     by_value
      - .offset:         4
        .size:           4
        .value_kind:     by_value
      - .offset:         8
        .size:           4
        .value_kind:     by_value
      - .actual_access:  read_only
        .address_space:  global
        .offset:         16
        .size:           8
        .value_kind:     global_buffer
      - .actual_access:  read_only
        .address_space:  global
        .offset:         24
        .size:           8
        .value_kind:     global_buffer
      - .actual_access:  read_only
        .address_space:  global
        .offset:         32
        .size:           8
        .value_kind:     global_buffer
      - .actual_access:  read_only
        .address_space:  global
        .offset:         40
        .size:           8
        .value_kind:     global_buffer
      - .actual_access:  write_only
        .address_space:  global
        .offset:         48
        .size:           8
        .value_kind:     global_buffer
      - .offset:         56
        .size:           4
        .value_kind:     hidden_block_count_x
      - .offset:         60
        .size:           4
        .value_kind:     hidden_block_count_y
      - .offset:         64
        .size:           4
        .value_kind:     hidden_block_count_z
      - .offset:         68
        .size:           2
        .value_kind:     hidden_group_size_x
      - .offset:         70
        .size:           2
        .value_kind:     hidden_group_size_y
      - .offset:         72
        .size:           2
        .value_kind:     hidden_group_size_z
      - .offset:         74
        .size:           2
        .value_kind:     hidden_remainder_x
      - .offset:         76
        .size:           2
        .value_kind:     hidden_remainder_y
      - .offset:         78
        .size:           2
        .value_kind:     hidden_remainder_z
      - .offset:         96
        .size:           8
        .value_kind:     hidden_global_offset_x
      - .offset:         104
        .size:           8
        .value_kind:     hidden_global_offset_y
      - .offset:         112
        .size:           8
        .value_kind:     hidden_global_offset_z
      - .offset:         120
        .size:           2
        .value_kind:     hidden_grid_dims
    .group_segment_fixed_size: 40960
    .kernarg_segment_align: 8
    .kernarg_segment_size: 312
    .language:       OpenCL C
    .language_version:
      - 2
      - 0
    .max_flat_workgroup_size: 512
    .name:           _ZN9rocsparseL44gtsv_nopivot_strided_batch_pcr_stage2_kernelILj512E21rocsparse_complex_numIdEEEviiiPKT0_S5_S5_S5_PS3_
    .private_segment_fixed_size: 0
    .sgpr_count:     22
    .sgpr_spill_count: 0
    .symbol:         _ZN9rocsparseL44gtsv_nopivot_strided_batch_pcr_stage2_kernelILj512E21rocsparse_complex_numIdEEEviiiPKT0_S5_S5_S5_PS3_.kd
    .uniform_work_group_size: 1
    .uses_dynamic_stack: false
    .vgpr_count:     60
    .vgpr_spill_count: 0
    .wavefront_size: 64
amdhsa.target:   amdgcn-amd-amdhsa--gfx950
amdhsa.version:
  - 1
  - 2
...

	.end_amdgpu_metadata
